;; amdgpu-corpus repo=ROCm/rocFFT kind=compiled arch=gfx906 opt=O3
	.text
	.amdgcn_target "amdgcn-amd-amdhsa--gfx906"
	.amdhsa_code_object_version 6
	.protected	bluestein_single_fwd_len195_dim1_half_op_CI_CI ; -- Begin function bluestein_single_fwd_len195_dim1_half_op_CI_CI
	.globl	bluestein_single_fwd_len195_dim1_half_op_CI_CI
	.p2align	8
	.type	bluestein_single_fwd_len195_dim1_half_op_CI_CI,@function
bluestein_single_fwd_len195_dim1_half_op_CI_CI: ; @bluestein_single_fwd_len195_dim1_half_op_CI_CI
; %bb.0:
	s_load_dwordx4 s[8:11], s[4:5], 0x28
	v_mul_u32_u24_e32 v1, 0x13b2, v0
	v_lshrrev_b32_e32 v1, 16, v1
	v_lshl_add_u32 v10, s6, 2, v1
	v_mov_b32_e32 v11, 0
	s_waitcnt lgkmcnt(0)
	v_cmp_gt_u64_e32 vcc, s[8:9], v[10:11]
	s_and_saveexec_b64 s[0:1], vcc
	s_cbranch_execz .LBB0_15
; %bb.1:
	s_load_dwordx4 s[0:3], s[4:5], 0x18
	s_load_dwordx2 s[16:17], s[4:5], 0x0
	v_mul_lo_u16_e32 v2, 13, v1
	v_sub_u16_e32 v45, v0, v2
	v_lshlrev_b32_e32 v35, 2, v45
	s_waitcnt lgkmcnt(0)
	s_load_dwordx4 s[12:15], s[0:1], 0x0
	v_or_b32_e32 v48, 28, v45
	v_or_b32_e32 v47, 58, v45
	s_waitcnt lgkmcnt(0)
	v_mad_u64_u32 v[2:3], s[0:1], s14, v10, 0
	v_mad_u64_u32 v[4:5], s[0:1], s12, v45, 0
	v_mov_b32_e32 v0, v3
	s_mul_hi_u32 s6, s12, 60
	v_mov_b32_e32 v3, v5
	v_mad_u64_u32 v[5:6], s[0:1], s15, v10, v[0:1]
	v_mad_u64_u32 v[6:7], s[0:1], s13, v45, v[3:4]
	v_mov_b32_e32 v3, v5
	v_lshlrev_b64 v[2:3], 2, v[2:3]
	v_mov_b32_e32 v5, v6
	v_mov_b32_e32 v0, s11
	v_add_co_u32_e32 v2, vcc, s10, v2
	v_lshlrev_b64 v[4:5], 2, v[4:5]
	v_addc_co_u32_e32 v3, vcc, v0, v3, vcc
	v_add_co_u32_e32 v4, vcc, v2, v4
	v_and_b32_e32 v0, 3, v1
	s_mul_i32 s1, s13, 60
	v_addc_co_u32_e32 v5, vcc, v3, v5, vcc
	v_mul_u32_u24_e32 v0, 0xc3, v0
	s_mul_i32 s0, s12, 60
	s_add_i32 s1, s6, s1
	v_lshlrev_b32_e32 v62, 2, v0
	v_mov_b32_e32 v1, s1
	v_add_co_u32_e32 v0, vcc, s0, v4
	v_addc_co_u32_e32 v1, vcc, v5, v1, vcc
	global_load_dword v6, v[4:5], off
	global_load_dword v61, v35, s[16:17]
	global_load_dword v60, v35, s[16:17] offset:60
	global_load_dword v59, v35, s[16:17] offset:120
	v_mov_b32_e32 v8, s1
	global_load_dword v4, v[0:1], off
	v_add_co_u32_e32 v0, vcc, s0, v0
	v_addc_co_u32_e32 v1, vcc, v1, v8, vcc
	v_mov_b32_e32 v9, s1
	global_load_dword v5, v[0:1], off
	v_add_co_u32_e32 v0, vcc, s0, v0
	v_addc_co_u32_e32 v1, vcc, v1, v9, vcc
	v_mov_b32_e32 v7, s17
	v_add_co_u32_e32 v8, vcc, s16, v35
	v_addc_co_u32_e32 v9, vcc, 0, v7, vcc
	global_load_dword v11, v[0:1], off
	global_load_dword v58, v35, s[16:17] offset:180
	global_load_dword v57, v35, s[16:17] offset:240
	;; [unrolled: 1-line block ×6, first 2 shown]
	v_mov_b32_e32 v7, s1
	v_add_co_u32_e32 v0, vcc, s0, v0
	v_addc_co_u32_e32 v1, vcc, v1, v7, vcc
	global_load_dword v7, v[0:1], off
	v_mov_b32_e32 v12, s1
	v_add_co_u32_e32 v0, vcc, s0, v0
	v_addc_co_u32_e32 v1, vcc, v1, v12, vcc
	global_load_dword v12, v[0:1], off
	v_mov_b32_e32 v13, s1
	v_add_co_u32_e32 v0, vcc, s0, v0
	v_addc_co_u32_e32 v1, vcc, v1, v13, vcc
	global_load_dword v13, v[0:1], off
	v_mov_b32_e32 v14, s1
	v_add_co_u32_e32 v0, vcc, s0, v0
	v_addc_co_u32_e32 v1, vcc, v1, v14, vcc
	global_load_dword v14, v[0:1], off
	v_mov_b32_e32 v15, s1
	v_add_co_u32_e32 v0, vcc, s0, v0
	v_addc_co_u32_e32 v1, vcc, v1, v15, vcc
	global_load_dword v15, v[0:1], off
	v_mov_b32_e32 v16, s1
	v_add_co_u32_e32 v0, vcc, s0, v0
	v_addc_co_u32_e32 v1, vcc, v1, v16, vcc
	global_load_dword v16, v[0:1], off
	global_load_dword v52, v35, s[16:17] offset:540
	v_mov_b32_e32 v19, s1
	v_add_co_u32_e32 v0, vcc, s0, v0
	v_addc_co_u32_e32 v1, vcc, v1, v19, vcc
	global_load_dword v19, v[0:1], off
	global_load_dword v51, v35, s[16:17] offset:600
	v_mov_b32_e32 v20, s1
	v_add_co_u32_e32 v0, vcc, s0, v0
	v_addc_co_u32_e32 v1, vcc, v1, v20, vcc
	global_load_dword v20, v[0:1], off
	;; [unrolled: 5-line block ×3, first 2 shown]
	global_load_dword v49, v35, s[16:17] offset:720
	v_add_u32_e32 v46, v62, v35
	v_cmp_gt_u16_e32 vcc, 2, v45
	s_waitcnt vmcnt(25)
	v_lshrrev_b32_e32 v17, 16, v6
	s_waitcnt vmcnt(24)
	v_mul_f16_sdwa v18, v61, v6 dst_sel:DWORD dst_unused:UNUSED_PAD src0_sel:WORD_1 src1_sel:DWORD
	v_mul_f16_sdwa v22, v61, v17 dst_sel:DWORD dst_unused:UNUSED_PAD src0_sel:WORD_1 src1_sel:DWORD
	v_fma_f16 v17, v61, v17, -v18
	s_waitcnt vmcnt(21)
	v_lshrrev_b32_e32 v18, 16, v4
	v_mul_f16_sdwa v23, v60, v4 dst_sel:DWORD dst_unused:UNUSED_PAD src0_sel:WORD_1 src1_sel:DWORD
	v_fma_f16 v6, v61, v6, v22
	v_mul_f16_sdwa v22, v60, v18 dst_sel:DWORD dst_unused:UNUSED_PAD src0_sel:WORD_1 src1_sel:DWORD
	v_fma_f16 v18, v60, v18, -v23
	v_pack_b32_f16 v6, v6, v17
	s_waitcnt vmcnt(20)
	v_lshrrev_b32_e32 v23, 16, v5
	v_mul_f16_sdwa v24, v59, v5 dst_sel:DWORD dst_unused:UNUSED_PAD src0_sel:WORD_1 src1_sel:DWORD
	v_fma_f16 v4, v60, v4, v22
	v_mul_f16_sdwa v17, v59, v23 dst_sel:DWORD dst_unused:UNUSED_PAD src0_sel:WORD_1 src1_sel:DWORD
	v_fma_f16 v22, v59, v23, -v24
	s_waitcnt vmcnt(19)
	v_lshrrev_b32_e32 v23, 16, v11
	v_pack_b32_f16 v4, v4, v18
	v_fma_f16 v5, v59, v5, v17
	ds_write2_b32 v46, v6, v4 offset1:15
	v_pack_b32_f16 v4, v5, v22
	s_waitcnt vmcnt(18)
	v_mul_f16_sdwa v5, v58, v23 dst_sel:DWORD dst_unused:UNUSED_PAD src0_sel:WORD_1 src1_sel:DWORD
	v_mul_f16_sdwa v6, v58, v11 dst_sel:DWORD dst_unused:UNUSED_PAD src0_sel:WORD_1 src1_sel:DWORD
	v_fma_f16 v5, v58, v11, v5
	v_fma_f16 v6, v58, v23, -v6
	v_pack_b32_f16 v5, v5, v6
	s_load_dwordx2 s[6:7], s[4:5], 0x38
	s_load_dwordx4 s[8:11], s[2:3], 0x0
	ds_write2_b32 v46, v4, v5 offset0:30 offset1:45
	s_waitcnt vmcnt(12)
	v_lshrrev_b32_e32 v4, 16, v7
	v_mul_f16_sdwa v5, v57, v4 dst_sel:DWORD dst_unused:UNUSED_PAD src0_sel:WORD_1 src1_sel:DWORD
	v_mul_f16_sdwa v6, v57, v7 dst_sel:DWORD dst_unused:UNUSED_PAD src0_sel:WORD_1 src1_sel:DWORD
	v_fma_f16 v5, v57, v7, v5
	v_fma_f16 v4, v57, v4, -v6
	v_pack_b32_f16 v4, v5, v4
	s_waitcnt vmcnt(11)
	v_lshrrev_b32_e32 v5, 16, v12
	v_mul_f16_sdwa v6, v56, v5 dst_sel:DWORD dst_unused:UNUSED_PAD src0_sel:WORD_1 src1_sel:DWORD
	v_mul_f16_sdwa v7, v56, v12 dst_sel:DWORD dst_unused:UNUSED_PAD src0_sel:WORD_1 src1_sel:DWORD
	v_fma_f16 v6, v56, v12, v6
	v_fma_f16 v5, v56, v5, -v7
	v_pack_b32_f16 v5, v6, v5
	ds_write2_b32 v46, v4, v5 offset0:60 offset1:75
	s_waitcnt vmcnt(10)
	v_lshrrev_b32_e32 v4, 16, v13
	v_mul_f16_sdwa v5, v55, v4 dst_sel:DWORD dst_unused:UNUSED_PAD src0_sel:WORD_1 src1_sel:DWORD
	v_mul_f16_sdwa v6, v55, v13 dst_sel:DWORD dst_unused:UNUSED_PAD src0_sel:WORD_1 src1_sel:DWORD
	v_fma_f16 v5, v55, v13, v5
	v_fma_f16 v4, v55, v4, -v6
	v_pack_b32_f16 v4, v5, v4
	s_waitcnt vmcnt(9)
	v_lshrrev_b32_e32 v5, 16, v14
	v_mul_f16_sdwa v6, v54, v5 dst_sel:DWORD dst_unused:UNUSED_PAD src0_sel:WORD_1 src1_sel:DWORD
	v_mul_f16_sdwa v7, v54, v14 dst_sel:DWORD dst_unused:UNUSED_PAD src0_sel:WORD_1 src1_sel:DWORD
	v_fma_f16 v6, v54, v14, v6
	v_fma_f16 v5, v54, v5, -v7
	v_pack_b32_f16 v5, v6, v5
	ds_write2_b32 v46, v4, v5 offset0:90 offset1:105
	s_waitcnt vmcnt(8)
	v_lshrrev_b32_e32 v4, 16, v15
	v_mul_f16_sdwa v5, v53, v4 dst_sel:DWORD dst_unused:UNUSED_PAD src0_sel:WORD_1 src1_sel:DWORD
	v_mul_f16_sdwa v6, v53, v15 dst_sel:DWORD dst_unused:UNUSED_PAD src0_sel:WORD_1 src1_sel:DWORD
	v_fma_f16 v5, v53, v15, v5
	v_fma_f16 v4, v53, v4, -v6
	v_pack_b32_f16 v4, v5, v4
	s_waitcnt vmcnt(7)
	v_lshrrev_b32_e32 v5, 16, v16
	s_waitcnt vmcnt(6)
	v_mul_f16_sdwa v6, v52, v5 dst_sel:DWORD dst_unused:UNUSED_PAD src0_sel:WORD_1 src1_sel:DWORD
	v_mul_f16_sdwa v7, v52, v16 dst_sel:DWORD dst_unused:UNUSED_PAD src0_sel:WORD_1 src1_sel:DWORD
	v_fma_f16 v6, v52, v16, v6
	v_fma_f16 v5, v52, v5, -v7
	v_pack_b32_f16 v5, v6, v5
	ds_write2_b32 v46, v4, v5 offset0:120 offset1:135
	s_waitcnt vmcnt(5)
	v_lshrrev_b32_e32 v4, 16, v19
	s_waitcnt vmcnt(4)
	v_mul_f16_sdwa v5, v51, v4 dst_sel:DWORD dst_unused:UNUSED_PAD src0_sel:WORD_1 src1_sel:DWORD
	v_mul_f16_sdwa v6, v51, v19 dst_sel:DWORD dst_unused:UNUSED_PAD src0_sel:WORD_1 src1_sel:DWORD
	v_fma_f16 v5, v51, v19, v5
	v_fma_f16 v4, v51, v4, -v6
	v_pack_b32_f16 v4, v5, v4
	s_waitcnt vmcnt(3)
	v_lshrrev_b32_e32 v5, 16, v20
	s_waitcnt vmcnt(2)
	v_mul_f16_sdwa v6, v50, v5 dst_sel:DWORD dst_unused:UNUSED_PAD src0_sel:WORD_1 src1_sel:DWORD
	v_mul_f16_sdwa v7, v50, v20 dst_sel:DWORD dst_unused:UNUSED_PAD src0_sel:WORD_1 src1_sel:DWORD
	v_fma_f16 v6, v50, v20, v6
	v_fma_f16 v5, v50, v5, -v7
	v_pack_b32_f16 v5, v6, v5
	ds_write2_b32 v46, v4, v5 offset0:150 offset1:165
	s_waitcnt vmcnt(1)
	v_lshrrev_b32_e32 v4, 16, v21
	s_waitcnt vmcnt(0)
	v_mul_f16_sdwa v5, v49, v4 dst_sel:DWORD dst_unused:UNUSED_PAD src0_sel:WORD_1 src1_sel:DWORD
	v_mul_f16_sdwa v6, v49, v21 dst_sel:DWORD dst_unused:UNUSED_PAD src0_sel:WORD_1 src1_sel:DWORD
	v_fma_f16 v5, v49, v21, v5
	v_fma_f16 v4, v49, v4, -v6
	v_pack_b32_f16 v4, v5, v4
	ds_write_b32 v46, v4 offset:720
	s_and_saveexec_b64 s[2:3], vcc
	s_cbranch_execz .LBB0_3
; %bb.2:
	v_mad_u64_u32 v[4:5], s[0:1], s12, v48, 0
	v_mov_b32_e32 v6, 0xfffffd64
	v_mad_u64_u32 v[0:1], s[0:1], s12, v6, v[0:1]
	v_mad_u64_u32 v[5:6], s[0:1], s13, v48, v[5:6]
	s_mul_i32 s14, s13, 0xfffffd64
	s_sub_i32 s0, s14, s12
	v_lshlrev_b64 v[4:5], 2, v[4:5]
	v_add_u32_e32 v1, s0, v1
	v_add_co_u32_e64 v4, s[0:1], v2, v4
	v_addc_co_u32_e64 v5, s[0:1], v3, v5, s[0:1]
	global_load_dword v12, v[4:5], off
	v_mad_u64_u32 v[4:5], s[0:1], s12, v47, 0
	s_mul_i32 s14, s13, 0x78
	s_mul_hi_u32 s15, s12, 0x78
	v_mad_u64_u32 v[5:6], s[0:1], s13, v47, v[5:6]
	s_add_i32 s14, s15, s14
	s_mul_i32 s15, s12, 0x78
	global_load_dword v11, v[0:1], off
	v_mov_b32_e32 v7, s14
	v_add_co_u32_e64 v0, s[0:1], s15, v0
	v_lshlrev_b64 v[4:5], 2, v[4:5]
	v_addc_co_u32_e64 v1, s[0:1], v1, v7, s[0:1]
	v_add_co_u32_e64 v4, s[0:1], v2, v4
	v_addc_co_u32_e64 v5, s[0:1], v3, v5, s[0:1]
	v_or_b32_e32 v6, 0x58, v45
	global_load_dword v14, v[4:5], off
	v_mad_u64_u32 v[4:5], s[0:1], s12, v6, 0
	global_load_dword v13, v[0:1], off
	v_or_b32_e32 v20, 0x76, v45
	v_mad_u64_u32 v[5:6], s[0:1], s13, v6, v[5:6]
	v_add_co_u32_e64 v0, s[0:1], s15, v0
	v_addc_co_u32_e64 v1, s[0:1], v1, v7, s[0:1]
	v_lshlrev_b64 v[4:5], 2, v[4:5]
	v_mad_u64_u32 v[6:7], s[0:1], s12, v20, 0
	v_add_co_u32_e64 v4, s[0:1], v2, v4
	v_addc_co_u32_e64 v5, s[0:1], v3, v5, s[0:1]
	global_load_dword v15, v[8:9], off offset:52
	global_load_dword v16, v[8:9], off offset:112
	;; [unrolled: 1-line block ×4, first 2 shown]
	global_load_dword v21, v[4:5], off
	v_mov_b32_e32 v4, v7
	v_mad_u64_u32 v[4:5], s[0:1], s13, v20, v[4:5]
	global_load_dword v19, v[0:1], off
	v_mov_b32_e32 v22, s14
	v_mov_b32_e32 v7, v4
	v_add_co_u32_e64 v0, s[0:1], s15, v0
	v_lshlrev_b64 v[4:5], 2, v[6:7]
	v_addc_co_u32_e64 v1, s[0:1], v1, v22, s[0:1]
	v_add_co_u32_e64 v4, s[0:1], v2, v4
	v_addc_co_u32_e64 v5, s[0:1], v3, v5, s[0:1]
	v_or_b32_e32 v6, 0x94, v45
	global_load_dword v20, v[0:1], off
	global_load_dword v22, v[4:5], off
	global_load_dword v23, v[8:9], off offset:292
	v_mad_u64_u32 v[4:5], s[0:1], s12, v6, 0
	global_load_dword v24, v[8:9], off offset:352
	global_load_dword v25, v[8:9], off offset:412
	;; [unrolled: 1-line block ×3, first 2 shown]
	v_mov_b32_e32 v7, s14
	v_mad_u64_u32 v[5:6], s[0:1], s13, v6, v[5:6]
	v_add_co_u32_e64 v0, s[0:1], s15, v0
	v_lshlrev_b64 v[4:5], 2, v[4:5]
	v_addc_co_u32_e64 v1, s[0:1], v1, v7, s[0:1]
	v_add_co_u32_e64 v4, s[0:1], v2, v4
	v_or_b32_e32 v28, 0xb2, v45
	v_addc_co_u32_e64 v5, s[0:1], v3, v5, s[0:1]
	v_mad_u64_u32 v[6:7], s[0:1], s12, v28, 0
	global_load_dword v27, v[0:1], off
	global_load_dword v29, v[4:5], off
	global_load_dword v30, v[8:9], off offset:532
	v_mov_b32_e32 v4, v7
	v_mad_u64_u32 v[4:5], s[0:1], s13, v28, v[4:5]
	global_load_dword v32, v[8:9], off offset:592
	v_mov_b32_e32 v31, s14
	v_add_co_u32_e64 v0, s[0:1], s15, v0
	v_mov_b32_e32 v7, v4
	v_addc_co_u32_e64 v1, s[0:1], v1, v31, s[0:1]
	v_lshlrev_b64 v[4:5], 2, v[6:7]
	global_load_dword v28, v[0:1], off
	global_load_dword v31, v[8:9], off offset:652
	v_add_co_u32_e64 v2, s[0:1], v2, v4
	v_addc_co_u32_e64 v3, s[0:1], v3, v5, s[0:1]
	global_load_dword v4, v[2:3], off
	global_load_dword v5, v[8:9], off offset:712
	v_mov_b32_e32 v2, s14
	v_add_co_u32_e64 v0, s[0:1], s15, v0
	v_addc_co_u32_e64 v1, s[0:1], v1, v2, s[0:1]
	global_load_dword v2, v[0:1], off
	global_load_dword v3, v[8:9], off offset:772
	s_waitcnt vmcnt(24)
	v_lshrrev_b32_e32 v0, 16, v11
	s_waitcnt vmcnt(21)
	v_mul_f16_sdwa v1, v15, v0 dst_sel:DWORD dst_unused:UNUSED_PAD src0_sel:WORD_1 src1_sel:DWORD
	v_mul_f16_sdwa v6, v15, v11 dst_sel:DWORD dst_unused:UNUSED_PAD src0_sel:WORD_1 src1_sel:DWORD
	v_fma_f16 v1, v15, v11, v1
	v_fma_f16 v0, v15, v0, -v6
	v_pack_b32_f16 v0, v1, v0
	v_lshrrev_b32_e32 v1, 16, v12
	s_waitcnt vmcnt(20)
	v_mul_f16_sdwa v6, v16, v1 dst_sel:DWORD dst_unused:UNUSED_PAD src0_sel:WORD_1 src1_sel:DWORD
	v_mul_f16_sdwa v7, v16, v12 dst_sel:DWORD dst_unused:UNUSED_PAD src0_sel:WORD_1 src1_sel:DWORD
	v_fma_f16 v6, v16, v12, v6
	v_fma_f16 v1, v16, v1, -v7
	v_pack_b32_f16 v1, v6, v1
	ds_write2_b32 v46, v0, v1 offset0:13 offset1:28
	v_lshrrev_b32_e32 v0, 16, v13
	s_waitcnt vmcnt(19)
	v_mul_f16_sdwa v1, v17, v0 dst_sel:DWORD dst_unused:UNUSED_PAD src0_sel:WORD_1 src1_sel:DWORD
	v_mul_f16_sdwa v6, v17, v13 dst_sel:DWORD dst_unused:UNUSED_PAD src0_sel:WORD_1 src1_sel:DWORD
	v_fma_f16 v1, v17, v13, v1
	v_fma_f16 v0, v17, v0, -v6
	v_pack_b32_f16 v0, v1, v0
	v_lshrrev_b32_e32 v1, 16, v14
	s_waitcnt vmcnt(18)
	v_mul_f16_sdwa v6, v18, v1 dst_sel:DWORD dst_unused:UNUSED_PAD src0_sel:WORD_1 src1_sel:DWORD
	v_mul_f16_sdwa v7, v18, v14 dst_sel:DWORD dst_unused:UNUSED_PAD src0_sel:WORD_1 src1_sel:DWORD
	v_fma_f16 v6, v18, v14, v6
	v_fma_f16 v1, v18, v1, -v7
	v_pack_b32_f16 v1, v6, v1
	ds_write2_b32 v46, v0, v1 offset0:43 offset1:58
	s_waitcnt vmcnt(16)
	v_lshrrev_b32_e32 v0, 16, v19
	s_waitcnt vmcnt(13)
	v_mul_f16_sdwa v1, v23, v0 dst_sel:DWORD dst_unused:UNUSED_PAD src0_sel:WORD_1 src1_sel:DWORD
	v_mul_f16_sdwa v6, v23, v19 dst_sel:DWORD dst_unused:UNUSED_PAD src0_sel:WORD_1 src1_sel:DWORD
	v_fma_f16 v1, v23, v19, v1
	v_fma_f16 v0, v23, v0, -v6
	v_pack_b32_f16 v0, v1, v0
	v_lshrrev_b32_e32 v1, 16, v21
	s_waitcnt vmcnt(12)
	v_mul_f16_sdwa v6, v24, v1 dst_sel:DWORD dst_unused:UNUSED_PAD src0_sel:WORD_1 src1_sel:DWORD
	v_mul_f16_sdwa v7, v24, v21 dst_sel:DWORD dst_unused:UNUSED_PAD src0_sel:WORD_1 src1_sel:DWORD
	v_fma_f16 v6, v24, v21, v6
	v_fma_f16 v1, v24, v1, -v7
	v_pack_b32_f16 v1, v6, v1
	ds_write2_b32 v46, v0, v1 offset0:73 offset1:88
	v_lshrrev_b32_e32 v0, 16, v20
	s_waitcnt vmcnt(11)
	v_mul_f16_sdwa v1, v25, v0 dst_sel:DWORD dst_unused:UNUSED_PAD src0_sel:WORD_1 src1_sel:DWORD
	v_mul_f16_sdwa v6, v25, v20 dst_sel:DWORD dst_unused:UNUSED_PAD src0_sel:WORD_1 src1_sel:DWORD
	v_fma_f16 v1, v25, v20, v1
	v_fma_f16 v0, v25, v0, -v6
	v_pack_b32_f16 v0, v1, v0
	v_lshrrev_b32_e32 v1, 16, v22
	s_waitcnt vmcnt(10)
	v_mul_f16_sdwa v6, v26, v1 dst_sel:DWORD dst_unused:UNUSED_PAD src0_sel:WORD_1 src1_sel:DWORD
	v_mul_f16_sdwa v7, v26, v22 dst_sel:DWORD dst_unused:UNUSED_PAD src0_sel:WORD_1 src1_sel:DWORD
	v_fma_f16 v6, v26, v22, v6
	v_fma_f16 v1, v26, v1, -v7
	v_pack_b32_f16 v1, v6, v1
	ds_write2_b32 v46, v0, v1 offset0:103 offset1:118
	s_waitcnt vmcnt(9)
	v_lshrrev_b32_e32 v0, 16, v27
	s_waitcnt vmcnt(7)
	v_mul_f16_sdwa v1, v30, v0 dst_sel:DWORD dst_unused:UNUSED_PAD src0_sel:WORD_1 src1_sel:DWORD
	v_mul_f16_sdwa v6, v30, v27 dst_sel:DWORD dst_unused:UNUSED_PAD src0_sel:WORD_1 src1_sel:DWORD
	v_fma_f16 v1, v30, v27, v1
	v_fma_f16 v0, v30, v0, -v6
	v_pack_b32_f16 v0, v1, v0
	v_lshrrev_b32_e32 v1, 16, v29
	s_waitcnt vmcnt(6)
	v_mul_f16_sdwa v6, v32, v1 dst_sel:DWORD dst_unused:UNUSED_PAD src0_sel:WORD_1 src1_sel:DWORD
	v_mul_f16_sdwa v7, v32, v29 dst_sel:DWORD dst_unused:UNUSED_PAD src0_sel:WORD_1 src1_sel:DWORD
	v_fma_f16 v6, v32, v29, v6
	v_fma_f16 v1, v32, v1, -v7
	v_pack_b32_f16 v1, v6, v1
	ds_write2_b32 v46, v0, v1 offset0:133 offset1:148
	s_waitcnt vmcnt(5)
	v_lshrrev_b32_e32 v0, 16, v28
	s_waitcnt vmcnt(4)
	v_mul_f16_sdwa v1, v31, v0 dst_sel:DWORD dst_unused:UNUSED_PAD src0_sel:WORD_1 src1_sel:DWORD
	v_mul_f16_sdwa v6, v31, v28 dst_sel:DWORD dst_unused:UNUSED_PAD src0_sel:WORD_1 src1_sel:DWORD
	v_fma_f16 v1, v31, v28, v1
	v_fma_f16 v0, v31, v0, -v6
	v_pack_b32_f16 v0, v1, v0
	s_waitcnt vmcnt(3)
	v_lshrrev_b32_e32 v1, 16, v4
	s_waitcnt vmcnt(2)
	v_mul_f16_sdwa v6, v5, v1 dst_sel:DWORD dst_unused:UNUSED_PAD src0_sel:WORD_1 src1_sel:DWORD
	v_fma_f16 v6, v5, v4, v6
	v_mul_f16_sdwa v4, v5, v4 dst_sel:DWORD dst_unused:UNUSED_PAD src0_sel:WORD_1 src1_sel:DWORD
	v_fma_f16 v1, v5, v1, -v4
	v_pack_b32_f16 v1, v6, v1
	ds_write2_b32 v46, v0, v1 offset0:163 offset1:178
	s_waitcnt vmcnt(1)
	v_lshrrev_b32_e32 v0, 16, v2
	s_waitcnt vmcnt(0)
	v_mul_f16_sdwa v1, v3, v0 dst_sel:DWORD dst_unused:UNUSED_PAD src0_sel:WORD_1 src1_sel:DWORD
	v_fma_f16 v1, v3, v2, v1
	v_mul_f16_sdwa v2, v3, v2 dst_sel:DWORD dst_unused:UNUSED_PAD src0_sel:WORD_1 src1_sel:DWORD
	v_fma_f16 v0, v3, v0, -v2
	v_pack_b32_f16 v0, v1, v0
	ds_write_b32 v46, v0 offset:772
.LBB0_3:
	s_or_b64 exec, exec, s[2:3]
	s_waitcnt lgkmcnt(0)
	; wave barrier
	s_waitcnt lgkmcnt(0)
	ds_read2_b32 v[23:24], v46 offset1:15
	ds_read2_b32 v[31:32], v46 offset0:30 offset1:45
	ds_read2_b32 v[27:28], v46 offset0:60 offset1:75
	;; [unrolled: 1-line block ×5, first 2 shown]
	ds_read_b32 v65, v46 offset:720
	s_load_dwordx2 s[2:3], s[4:5], 0x8
	v_mov_b32_e32 v0, 0
                                        ; implicit-def: $vgpr3
                                        ; implicit-def: $vgpr6
                                        ; implicit-def: $vgpr5
                                        ; implicit-def: $vgpr21
                                        ; implicit-def: $vgpr20
                                        ; implicit-def: $vgpr36
	s_and_saveexec_b64 s[0:1], vcc
	s_cbranch_execz .LBB0_5
; %bb.4:
	ds_read2_b32 v[0:1], v46 offset0:13 offset1:28
	ds_read2_b32 v[19:20], v46 offset0:43 offset1:58
	;; [unrolled: 1-line block ×6, first 2 shown]
	ds_read_b32 v36, v46 offset:772
.LBB0_5:
	s_or_b64 exec, exec, s[0:1]
	s_mov_b32 s18, 0xbb7b
	s_waitcnt lgkmcnt(0)
	v_pk_add_f16 v42, v19, v22 neg_lo:[0,1] neg_hi:[0,1]
	s_mov_b32 s4, 0xb5ac
	s_mov_b32 s14, 0xb3a8
	v_pk_add_f16 v38, v22, v19
	v_mul_f16_sdwa v39, v42, s18 dst_sel:DWORD dst_unused:UNUSED_PAD src0_sel:WORD_1 src1_sel:DWORD
	s_mov_b32 s12, 0xbbc4
	v_fma_f16 v44, v38, s4, -v39
	v_fma_f16 v63, v38, s4, v39
	v_mul_f16_sdwa v39, v42, s14 dst_sel:DWORD dst_unused:UNUSED_PAD src0_sel:WORD_1 src1_sel:DWORD
	s_movk_i32 s25, 0x394e
	s_mov_b32 s5, 0xb9fd
	v_fma_f16 v67, v38, s12, -v39
	v_fma_f16 v68, v38, s12, v39
	v_mul_f16_sdwa v39, v42, s25 dst_sel:DWORD dst_unused:UNUSED_PAD src0_sel:WORD_1 src1_sel:DWORD
	s_movk_i32 s23, 0x3bf1
	s_movk_i32 s1, 0x2fb7
	v_fma_f16 v69, v38, s5, -v39
	v_fma_f16 v70, v38, s5, v39
	v_mul_f16_sdwa v39, v42, s23 dst_sel:DWORD dst_unused:UNUSED_PAD src0_sel:WORD_1 src1_sel:DWORD
	v_pk_add_f16 v43, v20, v21 neg_lo:[0,1] neg_hi:[0,1]
	v_pk_add_f16 v41, v1, v36 neg_lo:[0,1] neg_hi:[0,1]
	s_mov_b32 s21, 0xba95
	v_fma_f16 v71, v38, s1, -v39
	v_fma_f16 v72, v38, s1, v39
	v_pk_add_f16 v39, v21, v20
	v_mul_f16_sdwa v40, v43, s14 dst_sel:DWORD dst_unused:UNUSED_PAD src0_sel:WORD_1 src1_sel:DWORD
	s_movk_i32 s26, 0x3b7b
	v_pk_add_f16 v37, v36, v1
	v_mul_f16_sdwa v11, v41, s21 dst_sel:DWORD dst_unused:UNUSED_PAD src0_sel:WORD_1 src1_sel:DWORD
	s_movk_i32 s0, 0x388b
	s_movk_i32 s24, 0x3770
	v_fma_f16 v73, v39, s12, -v40
	v_fma_f16 v74, v39, s12, v40
	v_mul_f16_sdwa v40, v43, s26 dst_sel:DWORD dst_unused:UNUSED_PAD src0_sel:WORD_1 src1_sel:DWORD
	s_movk_i32 s13, 0x3b15
	v_fma_f16 v12, v37, s0, -v11
	s_mov_b32 s19, 0xbbf1
	v_fma_f16 v75, v39, s4, -v40
	v_fma_f16 v76, v39, s4, v40
	v_mul_f16_sdwa v40, v43, s24 dst_sel:DWORD dst_unused:UNUSED_PAD src0_sel:WORD_1 src1_sel:DWORD
	v_fma_f16 v11, v37, s0, v11
	v_mul_f16_sdwa v13, v41, s19 dst_sel:DWORD dst_unused:UNUSED_PAD src0_sel:WORD_1 src1_sel:DWORD
	v_mul_f16_sdwa v15, v41, s18 dst_sel:DWORD dst_unused:UNUSED_PAD src0_sel:WORD_1 src1_sel:DWORD
	s_mov_b32 s15, 0xb94e
	v_fma_f16 v77, v39, s13, -v40
	v_fma_f16 v78, v39, s13, v40
	v_mul_f16_sdwa v40, v43, s21 dst_sel:DWORD dst_unused:UNUSED_PAD src0_sel:WORD_1 src1_sel:DWORD
	v_add_f16_e32 v12, v12, v0
	v_pk_add_f16 v66, v4, v7 neg_lo:[0,1] neg_hi:[0,1]
	v_fma_f16 v14, v37, s1, -v13
	v_fma_f16 v13, v37, s1, v13
	v_fma_f16 v16, v37, s4, -v15
	v_mul_f16_sdwa v17, v41, s15 dst_sel:DWORD dst_unused:UNUSED_PAD src0_sel:WORD_1 src1_sel:DWORD
	v_fma_f16 v79, v39, s0, -v40
	v_fma_f16 v80, v39, s0, v40
	v_pk_add_f16 v40, v7, v4
	v_add_f16_e32 v12, v44, v12
	v_add_f16_e32 v11, v11, v0
	v_mul_f16_sdwa v44, v66, s25 dst_sel:DWORD dst_unused:UNUSED_PAD src0_sel:WORD_1 src1_sel:DWORD
	v_pk_add_f16 v64, v23, v24
	v_fma_f16 v15, v37, s4, v15
	v_fma_f16 v18, v37, s5, -v17
	v_add_f16_e32 v11, v63, v11
	v_fma_f16 v63, v40, s5, -v44
	v_fma_f16 v81, v40, s5, v44
	v_add_f16_e32 v13, v13, v0
	v_mul_f16_sdwa v44, v66, s24 dst_sel:DWORD dst_unused:UNUSED_PAD src0_sel:WORD_1 src1_sel:DWORD
	v_add_f16_e32 v16, v16, v0
	v_fma_f16 v17, v37, s5, v17
	v_add_f16_e32 v14, v14, v0
	v_add_f16_e32 v13, v68, v13
	;; [unrolled: 1-line block ×3, first 2 shown]
	v_fma_f16 v68, v40, s13, -v44
	v_fma_f16 v69, v40, s13, v44
	v_add_f16_e32 v15, v15, v0
	v_mul_f16_sdwa v44, v66, s19 dst_sel:DWORD dst_unused:UNUSED_PAD src0_sel:WORD_1 src1_sel:DWORD
	v_add_f16_e32 v18, v18, v0
	s_movk_i32 s28, 0x33a8
	v_pk_add_f16 v64, v64, v31
	v_add_f16_e32 v14, v67, v14
	v_add_f16_e32 v15, v70, v15
	v_add_f16_e32 v18, v71, v18
	v_fma_f16 v70, v40, s1, -v44
	v_fma_f16 v71, v40, s1, v44
	v_add_f16_e32 v17, v17, v0
	v_mul_f16_sdwa v44, v66, s28 dst_sel:DWORD dst_unused:UNUSED_PAD src0_sel:WORD_1 src1_sel:DWORD
	v_pk_add_f16 v67, v5, v6 neg_lo:[0,1] neg_hi:[0,1]
	v_pk_add_f16 v64, v64, v32
	v_add_f16_e32 v17, v72, v17
	v_add_f16_e32 v12, v73, v12
	v_fma_f16 v72, v40, s12, -v44
	v_fma_f16 v73, v40, s12, v44
	v_add_f16_e32 v11, v74, v11
	v_pk_add_f16 v44, v6, v5
	v_add_f16_e32 v13, v76, v13
	v_mul_f16_sdwa v74, v67, s23 dst_sel:DWORD dst_unused:UNUSED_PAD src0_sel:WORD_1 src1_sel:DWORD
	v_pk_add_f16 v64, v64, v27
	s_movk_i32 s27, 0x3a95
	v_add_f16_e32 v14, v75, v14
	v_add_f16_e32 v16, v77, v16
	v_fma_f16 v75, v44, s1, -v74
	v_fma_f16 v74, v44, s1, v74
	v_mul_f16_sdwa v76, v67, s21 dst_sel:DWORD dst_unused:UNUSED_PAD src0_sel:WORD_1 src1_sel:DWORD
	v_add_f16_e32 v12, v63, v12
	v_add_f16_e32 v11, v81, v11
	v_mul_f16_sdwa v63, v67, s24 dst_sel:DWORD dst_unused:UNUSED_PAD src0_sel:WORD_1 src1_sel:DWORD
	v_add_f16_e32 v13, v69, v13
	v_pk_add_f16 v69, v2, v3 neg_lo:[0,1] neg_hi:[0,1]
	v_pk_add_f16 v64, v64, v28
	v_add_f16_e32 v15, v78, v15
	v_add_f16_e32 v18, v79, v18
	v_fma_f16 v77, v44, s0, -v76
	v_add_f16_e32 v17, v80, v17
	v_mul_f16_sdwa v78, v67, s28 dst_sel:DWORD dst_unused:UNUSED_PAD src0_sel:WORD_1 src1_sel:DWORD
	v_add_f16_e32 v14, v68, v14
	v_fma_f16 v68, v44, s13, -v63
	v_fma_f16 v80, v44, s13, v63
	v_pk_add_f16 v63, v3, v2
	v_add_f16_e32 v16, v70, v16
	v_mul_f16_sdwa v70, v69, s24 dst_sel:DWORD dst_unused:UNUSED_PAD src0_sel:WORD_1 src1_sel:DWORD
	v_add_f16_e32 v74, v74, v11
	v_mul_f16_sdwa v11, v69, s27 dst_sel:DWORD dst_unused:UNUSED_PAD src0_sel:WORD_1 src1_sel:DWORD
	v_pk_add_f16 v64, v64, v25
	v_fma_f16 v76, v44, s0, v76
	v_fma_f16 v79, v44, s12, -v78
	v_add_f16_e32 v15, v71, v15
	v_add_f16_e32 v18, v72, v18
	v_fma_f16 v71, v63, s13, -v70
	v_mul_f16_sdwa v72, v69, s15 dst_sel:DWORD dst_unused:UNUSED_PAD src0_sel:WORD_1 src1_sel:DWORD
	v_add_f16_e32 v12, v75, v12
	v_add_f16_e32 v14, v77, v14
	v_fma_f16 v75, v63, s0, -v11
	v_fma_f16 v77, v63, s0, v11
	v_mul_f16_sdwa v11, v69, s18 dst_sel:DWORD dst_unused:UNUSED_PAD src0_sel:WORD_1 src1_sel:DWORD
	v_pk_add_f16 v64, v64, v26
	s_mov_b32 s20, 0xb770
	v_fma_f16 v78, v44, s12, v78
	v_fma_f16 v70, v63, s13, v70
	v_add_f16_e32 v17, v73, v17
	v_fma_f16 v73, v63, s5, -v72
	v_fma_f16 v72, v63, s5, v72
	v_add_f16_e32 v13, v76, v13
	v_add_f16_e32 v76, v79, v16
	v_fma_f16 v79, v63, s4, -v11
	v_fma_f16 v81, v63, s4, v11
	v_add_f16_e32 v11, v71, v12
	v_pk_add_f16 v64, v64, v29
	v_pk_add_f16 v71, v24, v65 neg_lo:[0,1] neg_hi:[0,1]
	v_add_f16_e32 v78, v78, v15
	v_add_f16_e32 v16, v70, v74
	;; [unrolled: 1-line block ×3, first 2 shown]
	v_pk_add_f16 v64, v64, v30
	v_pk_add_f16 v70, v65, v24
	v_mul_f16_sdwa v72, v71, s20 dst_sel:DWORD dst_unused:UNUSED_PAD src0_sel:WORD_1 src1_sel:DWORD
	v_add_f16_e32 v68, v68, v18
	v_pk_add_f16 v64, v64, v33
	v_fma_f16 v24, v70, s13, -v72
	s_mov_b32 s29, 0x3b15388b
	v_add_f16_e32 v12, v73, v14
	v_add_f16_e32 v14, v79, v68
	v_pk_add_f16 v68, v64, v34
	v_add_f16_e32 v64, v23, v24
	v_pk_mul_f16 v24, v70, s29
	s_mov_b32 s29, 0xba95b770
	s_mov_b32 s22, 0xffff
	v_pk_fma_f16 v73, v71, s29, v24 op_sel:[0,0,1] op_sel_hi:[1,1,0] neg_lo:[1,0,0] neg_hi:[1,0,0]
	v_pk_fma_f16 v74, v71, s29, v24 op_sel:[0,0,1] op_sel_hi:[1,1,0]
	v_bfi_b32 v24, s22, v74, v73
	v_add_f16_e32 v13, v75, v76
	v_pk_add_f16 v75, v23, v24 op_sel:[1,0] op_sel_hi:[0,1]
	v_pk_add_f16 v24, v34, v31
	v_pk_add_f16 v31, v31, v34 neg_lo:[0,1] neg_hi:[0,1]
	v_mul_f16_sdwa v34, v31, s21 dst_sel:DWORD dst_unused:UNUSED_PAD src0_sel:WORD_1 src1_sel:DWORD
	v_fma_f16 v76, v24, s0, -v34
	s_mov_b32 s29, 0x388bb5ac
	v_add_f16_e32 v18, v77, v78
	v_add_f16_e32 v64, v76, v64
	v_pk_add_f16 v78, v33, v32
	v_pk_add_f16 v76, v32, v33 neg_lo:[0,1] neg_hi:[0,1]
	v_pk_add_f16 v32, v30, v27
	v_pk_add_f16 v77, v27, v30 neg_lo:[0,1] neg_hi:[0,1]
	v_pk_add_f16 v30, v29, v28
	v_pk_add_f16 v83, v28, v29 neg_lo:[0,1] neg_hi:[0,1]
	v_pk_mul_f16 v28, v24, s29
	s_mov_b32 s29, 0xbb7bba95
	v_pk_fma_f16 v27, v31, s29, v28 op_sel:[0,0,1] op_sel_hi:[1,1,0] neg_lo:[1,0,0] neg_hi:[1,0,0]
	v_pk_fma_f16 v84, v31, s29, v28 op_sel:[0,0,1] op_sel_hi:[1,1,0]
	v_bfi_b32 v28, s22, v84, v27
	v_pk_add_f16 v33, v28, v75
	v_lshrrev_b32_e32 v75, 16, v70
	v_mul_f16_e32 v85, 0xba95, v71
	v_fma_f16 v28, v75, s0, v85
	v_lshrrev_b32_e32 v86, 16, v24
	v_mul_f16_e32 v87, 0xbb7b, v31
	v_add_f16_sdwa v28, v23, v28 dst_sel:DWORD dst_unused:UNUSED_PAD src0_sel:WORD_1 src1_sel:DWORD
	v_fma_f16 v29, v86, s4, v87
	v_add_f16_e32 v79, v29, v28
	v_mul_f16_sdwa v29, v76, s19 dst_sel:DWORD dst_unused:UNUSED_PAD src0_sel:WORD_1 src1_sel:DWORD
	s_mov_b32 s29, 0x2fb7bbc4
	v_add_f16_e32 v17, v80, v17
	v_fma_f16 v28, v78, s1, -v29
	s_mov_b32 s30, 0xb3a8bbf1
	v_pk_mul_f16 v80, v78, s29
	v_add_f16_e32 v64, v28, v64
	v_pk_fma_f16 v28, v76, s30, v80 op_sel:[0,0,1] op_sel_hi:[1,1,0] neg_lo:[1,0,0] neg_hi:[1,0,0]
	v_pk_fma_f16 v88, v76, s30, v80 op_sel:[0,0,1] op_sel_hi:[1,1,0]
	v_bfi_b32 v80, s22, v88, v28
	v_lshrrev_b32_e32 v89, 16, v78
	v_mul_f16_e32 v90, 0xb3a8, v76
	v_pk_add_f16 v80, v80, v33
	v_fma_f16 v33, v89, s12, v90
	v_add_f16_e32 v17, v81, v17
	v_add_f16_e32 v81, v33, v79
	v_mul_f16_sdwa v79, v77, s18 dst_sel:DWORD dst_unused:UNUSED_PAD src0_sel:WORD_1 src1_sel:DWORD
	s_mov_b32 s29, 0xb5acb9fd
	v_fma_f16 v33, v32, s4, -v79
	s_mov_b32 s30, 0x394ebb7b
	v_pk_mul_f16 v82, v32, s29
	v_add_f16_e32 v64, v33, v64
	v_pk_fma_f16 v33, v77, s30, v82 op_sel:[0,0,1] op_sel_hi:[1,1,0] neg_lo:[1,0,0] neg_hi:[1,0,0]
	v_pk_fma_f16 v91, v77, s30, v82 op_sel:[0,0,1] op_sel_hi:[1,1,0]
	v_bfi_b32 v82, s22, v91, v33
	v_lshrrev_b32_e32 v92, 16, v32
	v_mul_f16_e32 v93, 0x394e, v77
	v_pk_add_f16 v82, v82, v80
	v_fma_f16 v80, v92, s5, v93
	v_add_f16_e32 v94, v80, v81
	v_mul_f16_sdwa v80, v83, s15 dst_sel:DWORD dst_unused:UNUSED_PAD src0_sel:WORD_1 src1_sel:DWORD
	s_mov_b32 s29, 0xb9fd2fb7
	v_fma_f16 v81, v30, s5, -v80
	s_mov_b32 s30, 0x3bf1b94e
	v_pk_mul_f16 v95, v30, s29
	v_add_f16_e32 v64, v81, v64
	v_pk_fma_f16 v81, v83, s30, v95 op_sel:[0,0,1] op_sel_hi:[1,1,0] neg_lo:[1,0,0] neg_hi:[1,0,0]
	v_pk_fma_f16 v95, v83, s30, v95 op_sel:[0,0,1] op_sel_hi:[1,1,0]
	v_bfi_b32 v96, s22, v95, v81
	v_lshrrev_b32_e32 v97, 16, v30
	v_mul_f16_e32 v98, 0x3bf1, v83
	v_pk_add_f16 v96, v96, v82
	v_fma_f16 v82, v97, s1, v98
	v_pk_add_f16 v99, v25, v26 neg_lo:[0,1] neg_hi:[0,1]
	v_add_f16_e32 v94, v82, v94
	v_pk_add_f16 v82, v26, v25
	v_mul_f16_sdwa v25, v99, s14 dst_sel:DWORD dst_unused:UNUSED_PAD src0_sel:WORD_1 src1_sel:DWORD
	s_mov_b32 s30, 0xbbc43b15
	v_fma_f16 v26, v82, s12, -v25
	s_mov_b32 s29, 0x3770b3a8
	v_pk_mul_f16 v100, v82, s30
	v_add_f16_e32 v64, v26, v64
	v_pk_fma_f16 v26, v99, s29, v100 op_sel:[0,0,1] op_sel_hi:[1,1,0] neg_lo:[1,0,0] neg_hi:[1,0,0]
	v_pk_fma_f16 v101, v99, s29, v100 op_sel:[0,0,1] op_sel_hi:[1,1,0]
	v_bfi_b32 v101, s22, v101, v26
	v_pk_add_f16 v96, v101, v96
	v_lshrrev_b32_e32 v101, 16, v82
	v_mul_f16_e32 v102, 0x3770, v99
	v_fma_f16 v103, v101, s13, v102
	v_add_f16_e32 v94, v103, v94
	v_alignbit_b32 v94, v94, v96, 16
	v_pack_b32_f16 v96, v64, v96
	v_mul_lo_u16_e32 v64, 13, v45
	v_lshl_add_u32 v64, v64, 2, v62
	s_waitcnt lgkmcnt(0)
	; wave barrier
	ds_write2_b32 v64, v96, v94 offset0:1 offset1:2
	v_mul_f16_sdwa v94, v71, s19 dst_sel:DWORD dst_unused:UNUSED_PAD src0_sel:WORD_1 src1_sel:DWORD
	v_fma_f16 v96, v70, s1, -v94
	v_mul_f16_sdwa v103, v31, s14 dst_sel:DWORD dst_unused:UNUSED_PAD src0_sel:WORD_1 src1_sel:DWORD
	v_add_f16_e32 v96, v23, v96
	v_fma_f16 v104, v24, s12, -v103
	v_add_f16_e32 v96, v104, v96
	v_mul_f16_e32 v104, 0xbbf1, v71
	v_fma_f16 v105, v75, s1, v104
	v_mul_f16_e32 v106, 0xb3a8, v31
	v_add_f16_sdwa v105, v23, v105 dst_sel:DWORD dst_unused:UNUSED_PAD src0_sel:WORD_1 src1_sel:DWORD
	v_fma_f16 v107, v86, s12, v106
	v_add_f16_e32 v105, v107, v105
	v_mul_f16_sdwa v107, v71, s18 dst_sel:DWORD dst_unused:UNUSED_PAD src0_sel:WORD_1 src1_sel:DWORD
	v_fma_f16 v108, v70, s4, -v107
	v_mul_f16_sdwa v109, v31, s25 dst_sel:DWORD dst_unused:UNUSED_PAD src0_sel:WORD_1 src1_sel:DWORD
	v_add_f16_e32 v108, v23, v108
	v_fma_f16 v110, v24, s5, -v109
	v_add_f16_e32 v108, v110, v108
	v_mul_f16_e32 v110, 0xbb7b, v71
	v_fma_f16 v111, v75, s4, v110
	v_mul_f16_e32 v112, 0x394e, v31
	v_add_f16_sdwa v111, v23, v111 dst_sel:DWORD dst_unused:UNUSED_PAD src0_sel:WORD_1 src1_sel:DWORD
	v_fma_f16 v113, v86, s5, v112
	v_add_f16_e32 v111, v113, v111
	v_mul_f16_sdwa v113, v76, s26 dst_sel:DWORD dst_unused:UNUSED_PAD src0_sel:WORD_1 src1_sel:DWORD
	v_fma_f16 v114, v78, s4, -v113
	v_add_f16_e32 v96, v114, v96
	v_mul_f16_e32 v114, 0x3b7b, v76
	v_fma_f16 v115, v89, s4, v114
	v_add_f16_e32 v105, v115, v105
	v_mul_f16_sdwa v115, v76, s24 dst_sel:DWORD dst_unused:UNUSED_PAD src0_sel:WORD_1 src1_sel:DWORD
	v_fma_f16 v116, v78, s13, -v115
	v_add_f16_e32 v108, v116, v108
	v_mul_f16_e32 v116, 0x3770, v76
	;; [unrolled: 6-line block ×8, first 2 shown]
	v_fma_f16 v129, v101, s0, v128
	v_add_f16_e32 v111, v129, v111
	v_pack_b32_f16 v108, v108, v111
	v_pack_b32_f16 v96, v96, v105
	v_pk_add_f16 v65, v68, v65
	v_mul_f16_sdwa v68, v71, s15 dst_sel:DWORD dst_unused:UNUSED_PAD src0_sel:WORD_1 src1_sel:DWORD
	ds_write2_b32 v64, v96, v108 offset0:3 offset1:4
	v_fma_f16 v96, v70, s5, -v68
	v_mul_f16_sdwa v105, v31, s23 dst_sel:DWORD dst_unused:UNUSED_PAD src0_sel:WORD_1 src1_sel:DWORD
	v_add_f16_e32 v96, v23, v96
	v_fma_f16 v108, v24, s1, -v105
	v_add_f16_e32 v96, v108, v96
	v_mul_f16_e32 v108, 0xb94e, v71
	v_fma_f16 v111, v75, s5, v108
	v_mul_f16_e32 v129, 0x3bf1, v31
	v_add_f16_sdwa v111, v23, v111 dst_sel:DWORD dst_unused:UNUSED_PAD src0_sel:WORD_1 src1_sel:DWORD
	v_fma_f16 v130, v86, s1, v129
	v_add_f16_e32 v111, v130, v111
	v_mul_f16_sdwa v130, v76, s21 dst_sel:DWORD dst_unused:UNUSED_PAD src0_sel:WORD_1 src1_sel:DWORD
	v_fma_f16 v131, v78, s0, -v130
	v_add_f16_e32 v96, v131, v96
	v_mul_f16_e32 v131, 0xba95, v76
	v_fma_f16 v132, v89, s0, v131
	v_add_f16_e32 v111, v132, v111
	v_mul_f16_sdwa v132, v77, s28 dst_sel:DWORD dst_unused:UNUSED_PAD src0_sel:WORD_1 src1_sel:DWORD
	v_fma_f16 v133, v32, s12, -v132
	v_add_f16_e32 v96, v133, v96
	v_mul_f16_e32 v133, 0x33a8, v77
	;; [unrolled: 6-line block ×4, first 2 shown]
	v_fma_f16 v138, v101, s4, v137
	v_add_f16_e32 v111, v138, v111
	v_pack_b32_f16 v96, v96, v111
	ds_write2_b32 v64, v65, v96 offset1:5
	v_fma_f16 v65, v75, s0, -v85
	v_fma_f16 v85, v75, s1, -v104
	v_fma_f16 v72, v70, s13, v72
	v_fma_f16 v94, v70, s1, v94
	v_fma_f16 v104, v70, s4, v107
	v_fma_f16 v68, v70, s5, v68
	v_pk_mul_f16 v70, v70, s12 op_sel_hi:[1,0]
	v_fma_f16 v96, v75, s4, -v110
	v_fma_f16 v75, v75, s5, -v108
	v_pk_fma_f16 v107, v71, s14, v70 op_sel:[0,0,1] op_sel_hi:[1,0,0] neg_lo:[1,0,0] neg_hi:[1,0,0]
	v_pk_fma_f16 v70, v71, s14, v70 op_sel:[0,0,1] op_sel_hi:[1,0,0]
	v_add_f16_e32 v108, v23, v72
	v_pk_add_f16 v71, v23, v74 op_sel:[1,0] op_sel_hi:[0,1]
	v_add_f16_sdwa v65, v23, v65 dst_sel:DWORD dst_unused:UNUSED_PAD src0_sel:WORD_1 src1_sel:DWORD
	v_add_f16_e32 v72, v23, v94
	v_add_f16_sdwa v74, v23, v85 dst_sel:DWORD dst_unused:UNUSED_PAD src0_sel:WORD_1 src1_sel:DWORD
	v_add_f16_e32 v85, v23, v104
	;; [unrolled: 2-line block ×3, first 2 shown]
	v_add_f16_sdwa v75, v23, v75 dst_sel:DWORD dst_unused:UNUSED_PAD src0_sel:WORD_1 src1_sel:DWORD
	v_add_f16_sdwa v96, v23, v73 dst_sel:DWORD dst_unused:UNUSED_PAD src0_sel:WORD_1 src1_sel:DWORD
	v_pk_add_f16 v73, v23, v107 op_sel:[1,0] op_sel_hi:[0,1]
	v_pk_add_f16 v23, v23, v70 op_sel:[1,0] op_sel_hi:[0,1]
	v_pk_mul_f16 v70, v24, s13 op_sel_hi:[1,0]
	v_pk_fma_f16 v104, v31, s24, v70 op_sel:[0,0,1] op_sel_hi:[1,0,0] neg_lo:[1,0,0] neg_hi:[1,0,0]
	v_pk_fma_f16 v31, v31, s24, v70 op_sel:[0,0,1] op_sel_hi:[1,0,0]
	v_pk_add_f16 v23, v31, v23
	v_pk_mul_f16 v31, v78, s5 op_sel_hi:[1,0]
	v_pk_fma_f16 v70, v76, s15, v31 op_sel:[0,0,1] op_sel_hi:[1,0,0] neg_lo:[1,0,0] neg_hi:[1,0,0]
	v_pk_fma_f16 v31, v76, s15, v31 op_sel:[0,0,1] op_sel_hi:[1,0,0]
	v_pk_add_f16 v73, v104, v73
	v_pk_add_f16 v23, v31, v23
	v_pk_mul_f16 v31, v32, s0 op_sel_hi:[1,0]
	v_pk_add_f16 v70, v70, v73
	v_pk_fma_f16 v73, v77, s27, v31 op_sel:[0,0,1] op_sel_hi:[1,0,0] neg_lo:[1,0,0] neg_hi:[1,0,0]
	v_pk_fma_f16 v31, v77, s27, v31 op_sel:[0,0,1] op_sel_hi:[1,0,0]
	v_pk_add_f16 v23, v31, v23
	v_pk_mul_f16 v31, v30, s4 op_sel_hi:[1,0]
	v_pk_add_f16 v70, v73, v70
	v_pk_fma_f16 v73, v83, s18, v31 op_sel:[0,0,1] op_sel_hi:[1,0,0] neg_lo:[1,0,0] neg_hi:[1,0,0]
	v_pk_fma_f16 v31, v83, s18, v31 op_sel:[0,0,1] op_sel_hi:[1,0,0]
	v_pk_add_f16 v23, v31, v23
	v_pk_mul_f16 v31, v82, s1 op_sel_hi:[1,0]
	v_pk_add_f16 v70, v73, v70
	v_pk_fma_f16 v73, v99, s23, v31 op_sel:[0,0,1] op_sel_hi:[1,0,0] neg_lo:[1,0,0] neg_hi:[1,0,0]
	v_pk_fma_f16 v31, v99, s23, v31 op_sel:[0,0,1] op_sel_hi:[1,0,0]
	v_pk_add_f16 v70, v73, v70
	v_pk_add_f16 v23, v31, v23
	v_alignbit_b32 v31, v70, v23, 16
	v_alignbit_b32 v23, v23, v70, 16
	ds_write2_b32 v64, v23, v31 offset0:6 offset1:7
	v_fma_f16 v23, v24, s5, v109
	v_add_f16_e32 v23, v23, v85
	v_fma_f16 v31, v86, s5, -v112
	v_fma_f16 v73, v78, s13, v115
	v_add_f16_e32 v31, v31, v94
	v_fma_f16 v70, v24, s1, v105
	v_add_f16_e32 v23, v73, v23
	v_fma_f16 v73, v89, s13, -v116
	v_add_f16_e32 v68, v70, v68
	v_fma_f16 v70, v86, s1, -v129
	v_add_f16_e32 v31, v73, v31
	v_fma_f16 v73, v78, s0, v130
	v_add_f16_e32 v70, v70, v75
	v_add_f16_e32 v68, v73, v68
	v_fma_f16 v73, v89, s0, -v131
	v_add_f16_e32 v70, v73, v70
	v_fma_f16 v73, v32, s1, v119
	v_add_f16_e32 v23, v73, v23
	v_fma_f16 v73, v92, s1, -v120
	v_add_f16_e32 v31, v73, v31
	v_fma_f16 v73, v32, s12, v132
	;; [unrolled: 4-line block ×6, first 2 shown]
	v_add_f16_e32 v68, v73, v68
	v_fma_f16 v73, v101, s4, -v137
	v_add_f16_e32 v70, v73, v70
	v_pack_b32_f16 v23, v23, v31
	v_pack_b32_f16 v31, v68, v70
	ds_write2_b32 v64, v31, v23 offset0:8 offset1:9
	v_fma_f16 v31, v86, s4, -v87
	v_add_f16_e32 v31, v31, v65
	v_fma_f16 v65, v24, s12, v103
	v_fma_f16 v70, v89, s12, -v90
	v_add_f16_e32 v65, v65, v72
	v_fma_f16 v68, v86, s12, -v106
	v_add_f16_e32 v31, v70, v31
	v_fma_f16 v70, v78, s4, v113
	v_add_f16_e32 v68, v68, v74
	v_add_f16_e32 v65, v70, v65
	v_fma_f16 v70, v89, s4, -v114
	v_add_f16_e32 v68, v70, v68
	v_fma_f16 v70, v92, s5, -v93
	v_add_f16_e32 v31, v70, v31
	v_fma_f16 v70, v32, s13, v117
	v_add_f16_e32 v65, v70, v65
	v_fma_f16 v70, v92, s13, -v118
	v_add_f16_e32 v68, v70, v68
	v_fma_f16 v70, v97, s1, -v98
	v_pk_add_f16 v23, v84, v71
	v_add_f16_e32 v31, v70, v31
	v_fma_f16 v70, v30, s0, v121
	v_fma_f16 v71, v101, s13, -v102
	v_add_f16_e32 v65, v70, v65
	v_add_f16_e32 v31, v71, v31
	v_fma_f16 v71, v82, s5, v125
	v_fma_f16 v70, v97, s0, -v122
	v_add_f16_e32 v65, v71, v65
	v_pk_mul_f16 v71, v99, s29
	v_pk_add_f16 v23, v88, v23
	v_pack_b32_f16 v70, v70, v100
	v_bfi_b32 v68, s22, v68, v71
	v_pk_add_f16 v23, v91, v23
	v_pk_add_f16 v68, v70, v68
	v_mul_f16_e32 v70, 0xb94e, v99
	v_bfi_b32 v70, s22, v70, v23
	v_pk_add_f16 v70, v126, v70 neg_lo:[0,1] neg_hi:[0,1]
	v_pk_add_f16 v23, v95, v23
	v_bfi_b32 v23, s22, v70, v23
	v_pk_add_f16 v23, v23, v68
	v_alignbit_b32 v31, v31, v23, 16
	v_pack_b32_f16 v23, v65, v23
	v_lshrrev_b32_e32 v71, 16, v37
	v_mul_f16_e32 v72, 0xba95, v41
	v_mul_f16_e32 v68, 0xbbf1, v41
	ds_write2_b32 v64, v23, v31 offset0:10 offset1:11
	v_mul_f16_e32 v23, 0xbb7b, v41
	v_mul_f16_e32 v73, 0xb94e, v41
	;; [unrolled: 1-line block ×3, first 2 shown]
	v_mul_f16_sdwa v84, v41, s20 dst_sel:DWORD dst_unused:UNUSED_PAD src0_sel:WORD_1 src1_sel:DWORD
	v_fma_f16 v70, v71, s0, v72
	v_fma_f16 v72, v71, s0, -v72
	v_fma_f16 v65, v71, s1, v68
	v_fma_f16 v68, v71, s1, -v68
	;; [unrolled: 2-line block ×5, first 2 shown]
	v_fma_f16 v75, v37, s13, v84
	v_mul_f16_sdwa v83, v42, s21 dst_sel:DWORD dst_unused:UNUSED_PAD src0_sel:WORD_1 src1_sel:DWORD
	v_add_f16_e32 v75, v75, v0
	v_fma_f16 v77, v38, s0, v83
	v_add_f16_e32 v75, v77, v75
	v_lshrrev_b32_e32 v77, 16, v38
	v_mul_f16_e32 v85, 0xbb7b, v42
	v_fma_f16 v86, v77, s4, v85
	v_fma_f16 v85, v77, s4, -v85
	v_add_f16_sdwa v72, v72, v0 dst_sel:DWORD dst_unused:UNUSED_PAD src0_sel:DWORD src1_sel:WORD_1
	v_add_f16_sdwa v70, v70, v0 dst_sel:DWORD dst_unused:UNUSED_PAD src0_sel:DWORD src1_sel:WORD_1
	v_add_f16_e32 v72, v85, v72
	v_mul_f16_e32 v85, 0xb3a8, v42
	v_add_f16_e32 v70, v86, v70
	v_fma_f16 v86, v77, s12, v85
	v_fma_f16 v85, v77, s12, -v85
	v_add_f16_sdwa v68, v68, v0 dst_sel:DWORD dst_unused:UNUSED_PAD src0_sel:DWORD src1_sel:WORD_1
	v_add_f16_sdwa v65, v65, v0 dst_sel:DWORD dst_unused:UNUSED_PAD src0_sel:DWORD src1_sel:WORD_1
	v_add_f16_e32 v68, v85, v68
	v_mul_f16_e32 v85, 0x394e, v42
	v_add_f16_e32 v65, v86, v65
	v_fma_f16 v86, v77, s5, v85
	v_fma_f16 v85, v77, s5, -v85
	v_add_f16_sdwa v23, v23, v0 dst_sel:DWORD dst_unused:UNUSED_PAD src0_sel:DWORD src1_sel:WORD_1
	v_add_f16_sdwa v31, v31, v0 dst_sel:DWORD dst_unused:UNUSED_PAD src0_sel:DWORD src1_sel:WORD_1
	v_add_f16_e32 v23, v85, v23
	v_mul_f16_e32 v85, 0x3bf1, v42
	v_add_f16_e32 v31, v86, v31
	v_fma_f16 v86, v77, s1, v85
	v_fma_f16 v85, v77, s1, -v85
	v_add_f16_sdwa v73, v73, v0 dst_sel:DWORD dst_unused:UNUSED_PAD src0_sel:DWORD src1_sel:WORD_1
	s_mov_b32 s21, 0xb3a8b770
	v_add_f16_sdwa v74, v74, v0 dst_sel:DWORD dst_unused:UNUSED_PAD src0_sel:DWORD src1_sel:WORD_1
	v_add_f16_e32 v73, v85, v73
	s_mov_b32 s20, 0x3b15bbc4
	v_pk_mul_f16 v85, v41, s21
	s_mov_b32 s23, 0x3770ba95
	v_add_f16_e32 v74, v86, v74
	v_pk_fma_f16 v41, v37, s20, v85 op_sel:[0,0,1] op_sel_hi:[1,1,0] neg_lo:[0,0,1] neg_hi:[0,0,1]
	s_mov_b32 s21, 0x388b3b15
	v_pk_mul_f16 v86, v42, s23
	v_pk_add_f16 v41, v41, v0
	v_pk_fma_f16 v87, v38, s21, v86 op_sel:[0,0,1] op_sel_hi:[1,1,0] neg_lo:[0,0,1] neg_hi:[0,0,1]
	v_mul_f16_e32 v92, 0x3770, v42
	v_pk_add_f16 v88, v87, v41
	v_add_f16_sdwa v41, v71, v0 dst_sel:DWORD dst_unused:UNUSED_PAD src0_sel:DWORD src1_sel:WORD_1
	v_fma_f16 v42, v77, s13, -v92
	v_add_f16_e32 v42, v42, v41
	v_mul_f16_sdwa v41, v43, s19 dst_sel:DWORD dst_unused:UNUSED_PAD src0_sel:WORD_1 src1_sel:DWORD
	v_fma_f16 v71, v39, s1, v41
	v_add_f16_e32 v71, v71, v75
	v_lshrrev_b32_e32 v93, 16, v39
	v_mul_f16_e32 v75, 0xb3a8, v43
	v_fma_f16 v87, v93, s12, v75
	v_fma_f16 v75, v93, s12, -v75
	v_add_f16_e32 v72, v75, v72
	v_mul_f16_e32 v75, 0x3b7b, v43
	v_add_f16_e32 v70, v87, v70
	v_fma_f16 v87, v93, s4, v75
	v_fma_f16 v75, v93, s4, -v75
	v_add_f16_e32 v68, v75, v68
	v_mul_f16_e32 v75, 0x3770, v43
	v_add_f16_e32 v65, v87, v65
	;; [unrolled: 5-line block ×3, first 2 shown]
	v_fma_f16 v87, v93, s0, v75
	s_mov_b32 s23, 0xb94ebbf1
	v_mul_f16_e32 v94, 0xb94e, v43
	v_add_f16_e32 v74, v87, v74
	v_fma_f16 v75, v93, s0, -v75
	s_mov_b32 s19, 0x2fb7b9fd
	v_pk_mul_f16 v87, v43, s23
	v_fma_f16 v43, v93, s5, -v94
	v_add_f16_e32 v73, v75, v73
	v_pk_fma_f16 v75, v39, s19, v87 op_sel:[0,0,1] op_sel_hi:[1,1,0] neg_lo:[0,0,1] neg_hi:[0,0,1]
	v_add_f16_e32 v43, v43, v42
	v_mul_f16_sdwa v42, v66, s18 dst_sel:DWORD dst_unused:UNUSED_PAD src0_sel:WORD_1 src1_sel:DWORD
	v_pk_add_f16 v75, v75, v88
	v_fma_f16 v88, v40, s4, v42
	v_add_f16_e32 v71, v88, v71
	v_lshrrev_b32_e32 v95, 16, v40
	v_mul_f16_e32 v88, 0x394e, v66
	v_fma_f16 v89, v95, s5, v88
	v_fma_f16 v88, v95, s5, -v88
	v_add_f16_e32 v72, v88, v72
	v_mul_f16_e32 v88, 0x3770, v66
	v_add_f16_e32 v70, v89, v70
	v_fma_f16 v89, v95, s13, v88
	v_fma_f16 v88, v95, s13, -v88
	v_add_f16_e32 v68, v88, v68
	v_mul_f16_e32 v88, 0xbbf1, v66
	v_add_f16_e32 v65, v89, v65
	;; [unrolled: 5-line block ×3, first 2 shown]
	v_fma_f16 v89, v95, s12, v88
	s_mov_b32 s23, 0x3a95bb7b
	v_mul_f16_e32 v97, 0x3a95, v66
	v_add_f16_e32 v74, v89, v74
	v_fma_f16 v88, v95, s12, -v88
	s_mov_b32 s18, 0xb5ac388b
	v_pk_mul_f16 v89, v66, s23
	v_fma_f16 v66, v95, s0, -v97
	v_add_f16_e32 v73, v88, v73
	v_pk_fma_f16 v88, v40, s18, v89 op_sel:[0,0,1] op_sel_hi:[1,1,0] neg_lo:[0,0,1] neg_hi:[0,0,1]
	v_add_f16_e32 v66, v66, v43
	v_mul_f16_sdwa v43, v67, s15 dst_sel:DWORD dst_unused:UNUSED_PAD src0_sel:WORD_1 src1_sel:DWORD
	v_pk_add_f16 v75, v88, v75
	v_fma_f16 v88, v44, s5, v43
	v_add_f16_e32 v71, v88, v71
	v_lshrrev_b32_e32 v98, 16, v44
	v_mul_f16_e32 v88, 0x3bf1, v67
	v_fma_f16 v90, v98, s1, v88
	v_fma_f16 v88, v98, s1, -v88
	v_add_f16_e32 v91, v88, v72
	v_mul_f16_e32 v72, 0xba95, v67
	v_fma_f16 v88, v98, s0, v72
	v_fma_f16 v72, v98, s0, -v72
	v_add_f16_e32 v68, v72, v68
	v_mul_f16_e32 v72, 0x33a8, v67
	v_add_f16_e32 v65, v88, v65
	v_fma_f16 v88, v98, s12, v72
	v_fma_f16 v72, v98, s12, -v72
	v_add_f16_e32 v23, v72, v23
	v_mul_f16_e32 v72, 0x3770, v67
	v_add_f16_e32 v31, v88, v31
	v_fma_f16 v88, v98, s13, v72
	s_mov_b32 s23, 0xbb7bb94e
	v_mul_f16_e32 v101, 0xbb7b, v67
	v_add_f16_e32 v70, v90, v70
	v_add_f16_e32 v74, v88, v74
	v_fma_f16 v72, v98, s13, -v72
	s_mov_b32 s15, 0xb9fdb5ac
	v_pk_mul_f16 v90, v67, s23
	v_fma_f16 v67, v98, s4, -v101
	v_mul_f16_sdwa v88, v69, s14 dst_sel:DWORD dst_unused:UNUSED_PAD src0_sel:WORD_1 src1_sel:DWORD
	v_add_f16_e32 v99, v72, v73
	v_pk_fma_f16 v72, v44, s15, v90 op_sel:[0,0,1] op_sel_hi:[1,1,0] neg_lo:[0,0,1] neg_hi:[0,0,1]
	v_add_f16_e32 v102, v67, v66
	v_fma_f16 v66, v63, s12, v88
	v_lshrrev_b32_e32 v103, 16, v63
	v_mul_f16_e32 v67, 0x3770, v69
	v_pk_add_f16 v100, v72, v75
	v_add_f16_e32 v72, v66, v71
	v_fma_f16 v66, v103, s13, v67
	v_add_f16_e32 v66, v66, v70
	v_fma_f16 v67, v103, s13, -v67
	v_mul_f16_e32 v70, 0xb94e, v69
	v_add_f16_e32 v71, v67, v91
	v_fma_f16 v67, v103, s5, v70
	v_add_f16_e32 v67, v67, v65
	v_fma_f16 v65, v103, s5, -v70
	v_add_f16_e32 v73, v65, v68
	v_mul_f16_e32 v65, 0x3a95, v69
	v_fma_f16 v68, v103, s0, v65
	v_add_f16_e32 v68, v68, v31
	v_fma_f16 v31, v103, s0, -v65
	v_add_f16_e32 v75, v31, v23
	v_mul_f16_e32 v23, 0xbb7b, v69
	s_mov_b32 s13, 0x3bf1b3a8
	v_fma_f16 v31, v103, s4, v23
	v_fma_f16 v23, v103, s4, -v23
	s_mov_b32 s14, 0xbbc42fb7
	v_pk_mul_f16 v91, v69, s13
	v_add_f16_e32 v70, v31, v74
	v_add_f16_e32 v74, v23, v99
	v_pk_fma_f16 v23, v63, s14, v91 op_sel:[0,0,1] op_sel_hi:[1,1,0] neg_lo:[0,0,1] neg_hi:[0,0,1]
	v_pk_add_f16 v31, v23, v100
	v_pk_fma_f16 v23, v37, s20, v85 op_sel:[0,0,1] op_sel_hi:[1,1,0]
	v_mul_f16_e32 v65, 0x3b15, v77
	s_mov_b32 s13, 0x5040100
	v_pack_b32_f16 v23, v92, v23
	v_perm_b32 v65, v0, v65, s13
	v_pk_mul_f16 v92, v38, s21
	s_mov_b32 s21, 0x7060302
	v_pk_add_f16 v23, v23, v65
	v_pack_b32_f16 v65, v76, v92
	v_perm_b32 v76, v86, v0, s21
	v_pk_add_f16 v65, v65, v76
	v_pk_add_f16 v23, v65, v23
	v_mul_f16_e32 v65, 0xb9fd, v93
	v_pk_mul_f16 v93, v39, s19
	v_pack_b32_f16 v76, v94, v93
	v_bfi_b32 v65, s22, v65, v87
	v_pk_add_f16 v65, v76, v65
	v_pk_add_f16 v23, v65, v23
	v_mul_f16_e32 v65, 0x388b, v95
	v_pk_mul_f16 v94, v40, s18
	v_pack_b32_f16 v76, v97, v94
	v_bfi_b32 v65, s22, v65, v89
	;; [unrolled: 6-line block ×3, first 2 shown]
	v_pk_add_f16 v65, v76, v65
	v_pk_add_f16 v23, v65, v23
	v_mul_f16_e32 v65, 0x3bf1, v69
	v_mul_f16_e32 v69, 0x2fb7, v103
	v_bfi_b32 v76, s22, v69, v91
	v_pk_mul_f16 v69, v63, s14
	v_pack_b32_f16 v77, v65, v69
	v_pk_add_f16 v76, v77, v76
	v_pk_add_f16 v76, v76, v23
	v_fma_f16 v23, v103, s1, -v65
	v_add_f16_e32 v77, v23, v102
	v_fma_f16 v23, v24, s0, v34
	v_add_f16_e32 v23, v23, v108
	v_fma_f16 v24, v78, s1, v29
	v_add_f16_e32 v23, v24, v23
	v_fma_f16 v24, v32, s4, v79
	v_add_f16_e32 v23, v24, v23
	v_fma_f16 v24, v30, s5, v80
	v_add_f16_e32 v23, v24, v23
	v_fma_f16 v24, v82, s12, v25
	v_add_f16_e32 v23, v24, v23
	v_add_f16_e32 v24, v27, v96
	v_add_f16_e32 v24, v28, v24
	v_add_f16_e32 v24, v33, v24
	v_add_f16_e32 v24, v81, v24
	v_add_f16_e32 v24, v26, v24
	v_pack_b32_f16 v23, v23, v24
	ds_write_b32 v64, v23 offset:48
	v_add_co_u32_e64 v23, s[0:1], 13, v45
	v_mul_u32_u24_e32 v65, 13, v23
	s_and_saveexec_b64 s[0:1], vcc
	s_cbranch_execz .LBB0_7
; %bb.6:
	v_pk_mul_f16 v30, v37, s20
	v_mul_f16_e32 v24, 0x3b15, v37
	v_mul_f16_e32 v27, 0xb5ac, v40
	v_alignbit_b32 v32, v85, v85, 16
	v_bfi_b32 v40, s22, v84, v30
	v_pk_add_f16 v24, v24, v40 neg_lo:[0,1] neg_hi:[0,1]
	v_pk_add_f16 v30, v32, v30
	v_pk_add_f16 v1, v1, v0
	v_mul_f16_e32 v25, 0x388b, v38
	v_alignbit_b32 v33, v86, v86, 16
	v_bfi_b32 v24, s22, v24, v30
	v_bfi_b32 v30, s22, v83, v92
	v_pk_add_f16 v1, v19, v1
	v_pk_add_f16 v25, v25, v30 neg_lo:[0,1] neg_hi:[0,1]
	v_pk_add_f16 v30, v33, v92
	v_pk_add_f16 v1, v20, v1
	v_mul_f16_e32 v26, 0x2fb7, v39
	v_alignbit_b32 v34, v87, v87, 16
	v_bfi_b32 v25, s22, v25, v30
	v_bfi_b32 v30, s22, v41, v93
	v_pk_add_f16 v1, v4, v1
	v_pk_add_f16 v26, v26, v30 neg_lo:[0,1] neg_hi:[0,1]
	v_pk_add_f16 v30, v34, v93
	v_pk_add_f16 v1, v5, v1
	v_alignbit_b32 v37, v89, v89, 16
	v_bfi_b32 v26, s22, v26, v30
	v_bfi_b32 v30, s22, v42, v94
	v_pk_add_f16 v1, v2, v1
	v_pk_add_f16 v27, v27, v30 neg_lo:[0,1] neg_hi:[0,1]
	v_pk_add_f16 v30, v37, v94
	v_pk_add_f16 v1, v3, v1
	v_pk_add_f16 v0, v24, v0
	v_mul_f16_e32 v28, 0xb9fd, v44
	v_alignbit_b32 v38, v90, v90, 16
	v_bfi_b32 v27, s22, v27, v30
	v_bfi_b32 v30, s22, v43, v95
	v_pk_add_f16 v1, v6, v1
	v_pk_add_f16 v0, v25, v0
	v_mul_f16_e32 v29, 0xbbc4, v63
	v_alignbit_b32 v39, v91, v91, 16
	v_pk_add_f16 v28, v28, v30 neg_lo:[0,1] neg_hi:[0,1]
	v_pk_add_f16 v30, v38, v95
	v_pk_add_f16 v1, v7, v1
	;; [unrolled: 1-line block ×3, first 2 shown]
	v_bfi_b32 v2, s22, v88, v69
	v_bfi_b32 v28, s22, v28, v30
	v_pk_add_f16 v1, v21, v1
	v_pk_add_f16 v0, v27, v0
	v_pk_add_f16 v2, v29, v2 neg_lo:[0,1] neg_hi:[0,1]
	v_pk_add_f16 v3, v39, v69
	v_pk_add_f16 v1, v22, v1
	;; [unrolled: 1-line block ×3, first 2 shown]
	v_bfi_b32 v2, s22, v2, v3
	v_lshl_add_u32 v30, v65, 2, v62
	v_pk_add_f16 v1, v36, v1
	v_pk_add_f16 v0, v2, v0
	ds_write2_b32 v30, v1, v0 offset1:1
	v_perm_b32 v0, v67, v12, s13
	v_perm_b32 v1, v66, v11, s13
	ds_write2_b32 v30, v1, v0 offset0:2 offset1:3
	v_perm_b32 v0, v70, v14, s13
	v_perm_b32 v1, v68, v13, s13
	ds_write2_b32 v30, v1, v0 offset0:4 offset1:5
	v_perm_b32 v0, v76, v31, s13
	v_alignbit_b32 v1, v77, v76, 16
	ds_write2_b32 v30, v0, v1 offset0:6 offset1:7
	v_perm_b32 v0, v75, v18, s13
	v_perm_b32 v1, v74, v17, s13
	ds_write2_b32 v30, v1, v0 offset0:8 offset1:9
	v_perm_b32 v0, v71, v16, s13
	v_perm_b32 v1, v73, v15, s13
	ds_write2_b32 v30, v1, v0 offset0:10 offset1:11
	v_bfi_b32 v0, s22, v72, v31
	ds_write_b32 v30, v0 offset:48
.LBB0_7:
	s_or_b64 exec, exec, s[0:1]
	v_add_co_u32_e64 v34, s[0:1], 26, v45
	s_movk_i32 s0, 0x4f
	v_mul_lo_u16_sdwa v4, v34, s0 dst_sel:DWORD dst_unused:UNUSED_PAD src0_sel:BYTE_0 src1_sel:DWORD
	v_lshrrev_b16_e32 v4, 10, v4
	v_mul_lo_u16_e32 v4, 13, v4
	v_sub_u16_e32 v38, v34, v4
	v_lshlrev_b16_e32 v4, 2, v38
	v_lshlrev_b32_e32 v30, 4, v45
	v_and_b32_e32 v4, 0xfc, v4
	s_waitcnt lgkmcnt(0)
	; wave barrier
	s_waitcnt lgkmcnt(0)
	global_load_dwordx4 v[0:3], v30, s[2:3]
	v_lshlrev_b32_e32 v4, 2, v4
	global_load_dwordx4 v[4:7], v4, s[2:3]
	ds_read2_b32 v[19:20], v46 offset1:13
	ds_read2_b32 v[21:22], v46 offset0:26 offset1:39
	ds_read2_b32 v[24:25], v46 offset0:78 offset1:91
	;; [unrolled: 1-line block ×6, first 2 shown]
	ds_read_b32 v40, v46 offset:728
	s_waitcnt lgkmcnt(6)
	v_lshrrev_b32_e32 v43, 16, v22
	s_waitcnt lgkmcnt(5)
	v_lshrrev_b32_e32 v44, 16, v24
	;; [unrolled: 2-line block ×3, first 2 shown]
	v_mov_b32_e32 v41, s3
	v_add_co_u32_e64 v30, s[0:1], s2, v30
	s_waitcnt lgkmcnt(3)
	v_lshrrev_b32_e32 v69, 16, v28
	s_waitcnt lgkmcnt(2)
	v_lshrrev_b32_e32 v84, 16, v33
	v_lshrrev_b32_e32 v85, 16, v26
	v_addc_co_u32_e64 v41, s[0:1], 0, v41, s[0:1]
	s_waitcnt lgkmcnt(1)
	v_lshrrev_b32_e32 v86, 16, v37
	s_waitcnt lgkmcnt(0)
	v_lshrrev_b32_e32 v87, 16, v40
	s_movk_i32 s0, 0x3b9c
	s_mov_b32 s5, 0xbb9c
	s_movk_i32 s1, 0x38b4
	s_mov_b32 s12, 0xb8b4
	s_movk_i32 s4, 0x34f2
	v_lshrrev_b32_e32 v42, 16, v19
	v_lshrrev_b32_e32 v80, 16, v25
	;; [unrolled: 1-line block ×7, first 2 shown]
	s_waitcnt lgkmcnt(0)
	; wave barrier
	v_lshlrev_b32_e32 v39, 3, v45
	s_waitcnt vmcnt(1)
	v_mul_f16_sdwa v89, v22, v0 dst_sel:DWORD dst_unused:UNUSED_PAD src0_sel:DWORD src1_sel:WORD_1
	v_mul_f16_sdwa v90, v44, v1 dst_sel:DWORD dst_unused:UNUSED_PAD src0_sel:DWORD src1_sel:WORD_1
	;; [unrolled: 1-line block ×7, first 2 shown]
	v_fma_f16 v43, v43, v0, v89
	v_fma_f16 v24, v24, v1, -v90
	v_fma_f16 v27, v27, v2, -v92
	s_waitcnt vmcnt(0)
	v_mul_f16_sdwa v89, v33, v4 dst_sel:DWORD dst_unused:UNUSED_PAD src0_sel:DWORD src1_sel:WORD_1
	v_mul_f16_sdwa v94, v69, v3 dst_sel:DWORD dst_unused:UNUSED_PAD src0_sel:DWORD src1_sel:WORD_1
	v_fma_f16 v22, v22, v0, -v88
	v_fma_f16 v69, v69, v3, v95
	v_mul_f16_sdwa v88, v84, v4 dst_sel:DWORD dst_unused:UNUSED_PAD src0_sel:DWORD src1_sel:WORD_1
	v_mul_f16_sdwa v90, v85, v5 dst_sel:DWORD dst_unused:UNUSED_PAD src0_sel:DWORD src1_sel:WORD_1
	v_fma_f16 v84, v84, v4, v89
	v_add_f16_e32 v89, v24, v27
	v_fma_f16 v44, v44, v1, v91
	v_fma_f16 v63, v63, v2, v93
	v_fma_f16 v28, v28, v3, -v94
	v_mul_f16_sdwa v91, v26, v5 dst_sel:DWORD dst_unused:UNUSED_PAD src0_sel:DWORD src1_sel:WORD_1
	v_mul_f16_sdwa v92, v86, v6 dst_sel:DWORD dst_unused:UNUSED_PAD src0_sel:DWORD src1_sel:WORD_1
	;; [unrolled: 1-line block ×4, first 2 shown]
	v_fma_f16 v26, v26, v5, -v90
	v_fma_f16 v89, v89, -0.5, v19
	v_sub_f16_e32 v90, v43, v69
	v_fma_f16 v33, v33, v4, -v88
	v_fma_f16 v85, v85, v5, v91
	v_fma_f16 v37, v37, v6, -v92
	v_fma_f16 v86, v86, v6, v93
	;; [unrolled: 2-line block ×3, first 2 shown]
	v_sub_f16_e32 v92, v44, v63
	v_sub_f16_e32 v93, v22, v24
	;; [unrolled: 1-line block ×3, first 2 shown]
	v_fma_f16 v89, v90, s5, v89
	v_fma_f16 v91, v92, s1, v91
	v_add_f16_e32 v93, v93, v94
	v_fma_f16 v89, v92, s12, v89
	v_mul_f16_sdwa v40, v40, v7 dst_sel:DWORD dst_unused:UNUSED_PAD src0_sel:DWORD src1_sel:WORD_1
	v_fma_f16 v91, v93, s4, v91
	v_fma_f16 v89, v93, s4, v89
	v_add_f16_e32 v93, v22, v28
	v_fma_f16 v40, v87, v7, v40
	v_add_f16_e32 v87, v19, v22
	v_fma_f16 v19, v93, -0.5, v19
	v_add_f16_e32 v87, v87, v24
	v_fma_f16 v93, v92, s5, v19
	v_fma_f16 v19, v92, s0, v19
	v_add_f16_e32 v92, v44, v63
	v_add_f16_e32 v87, v87, v27
	v_sub_f16_e32 v94, v24, v22
	v_sub_f16_e32 v95, v27, v28
	v_fma_f16 v92, v92, -0.5, v42
	v_sub_f16_e32 v22, v22, v28
	v_add_f16_e32 v87, v87, v28
	v_fma_f16 v93, v90, s1, v93
	v_add_f16_e32 v94, v94, v95
	v_fma_f16 v19, v90, s12, v19
	v_fma_f16 v28, v22, s5, v92
	v_sub_f16_e32 v24, v24, v27
	v_fma_f16 v93, v94, s4, v93
	v_fma_f16 v19, v94, s4, v19
	;; [unrolled: 1-line block ×3, first 2 shown]
	v_sub_f16_e32 v28, v43, v44
	v_sub_f16_e32 v94, v69, v63
	v_fma_f16 v92, v22, s0, v92
	v_add_f16_e32 v28, v28, v94
	v_fma_f16 v92, v24, s1, v92
	v_fma_f16 v27, v28, s4, v27
	;; [unrolled: 1-line block ×3, first 2 shown]
	v_add_f16_e32 v92, v43, v69
	v_mul_f16_sdwa v98, v80, v1 dst_sel:DWORD dst_unused:UNUSED_PAD src0_sel:DWORD src1_sel:WORD_1
	v_mul_f16_sdwa v100, v81, v2 dst_sel:DWORD dst_unused:UNUSED_PAD src0_sel:DWORD src1_sel:WORD_1
	v_add_f16_e32 v90, v42, v43
	v_fma_f16 v42, v92, -0.5, v42
	v_mul_f16_sdwa v97, v32, v0 dst_sel:DWORD dst_unused:UNUSED_PAD src0_sel:DWORD src1_sel:WORD_1
	v_mul_f16_sdwa v99, v25, v1 dst_sel:DWORD dst_unused:UNUSED_PAD src0_sel:DWORD src1_sel:WORD_1
	;; [unrolled: 1-line block ×4, first 2 shown]
	v_fma_f16 v25, v25, v1, -v98
	v_fma_f16 v36, v36, v2, -v100
	v_add_f16_e32 v90, v90, v44
	v_fma_f16 v92, v24, s0, v42
	v_sub_f16_e32 v43, v44, v43
	v_sub_f16_e32 v44, v63, v69
	v_fma_f16 v24, v24, s5, v42
	v_mul_f16_sdwa v96, v79, v0 dst_sel:DWORD dst_unused:UNUSED_PAD src0_sel:DWORD src1_sel:WORD_1
	v_mul_f16_sdwa v102, v82, v3 dst_sel:DWORD dst_unused:UNUSED_PAD src0_sel:DWORD src1_sel:WORD_1
	v_fma_f16 v79, v79, v0, v97
	v_fma_f16 v82, v82, v3, v103
	;; [unrolled: 1-line block ×3, first 2 shown]
	v_add_f16_e32 v43, v43, v44
	v_fma_f16 v22, v22, s1, v24
	v_add_f16_e32 v42, v25, v36
	v_fma_f16 v32, v32, v0, -v96
	v_fma_f16 v80, v80, v1, v99
	v_fma_f16 v81, v81, v2, v101
	v_fma_f16 v29, v29, v3, -v102
	v_add_f16_e32 v90, v90, v63
	v_fma_f16 v44, v43, s4, v92
	v_fma_f16 v22, v43, s4, v22
	v_fma_f16 v42, v42, -0.5, v20
	v_sub_f16_e32 v43, v79, v82
	v_add_f16_e32 v90, v90, v69
	v_fma_f16 v63, v43, s0, v42
	v_sub_f16_e32 v69, v80, v81
	v_sub_f16_e32 v92, v32, v25
	;; [unrolled: 1-line block ×3, first 2 shown]
	v_fma_f16 v42, v43, s5, v42
	v_fma_f16 v63, v69, s1, v63
	v_add_f16_e32 v92, v92, v94
	v_fma_f16 v42, v69, s12, v42
	v_add_f16_e32 v24, v20, v32
	v_fma_f16 v63, v92, s4, v63
	v_fma_f16 v42, v92, s4, v42
	v_add_f16_e32 v92, v32, v29
	v_add_f16_e32 v24, v24, v25
	v_fma_f16 v20, v92, -0.5, v20
	v_add_f16_e32 v24, v24, v36
	v_fma_f16 v92, v69, s5, v20
	v_sub_f16_e32 v94, v25, v32
	v_sub_f16_e32 v95, v36, v29
	v_fma_f16 v20, v69, s0, v20
	v_add_f16_e32 v69, v80, v81
	v_add_f16_e32 v24, v24, v29
	v_fma_f16 v92, v43, s1, v92
	v_add_f16_e32 v94, v94, v95
	v_fma_f16 v20, v43, s12, v20
	v_fma_f16 v69, v69, -0.5, v78
	v_sub_f16_e32 v29, v32, v29
	v_fma_f16 v92, v94, s4, v92
	v_fma_f16 v20, v94, s4, v20
	;; [unrolled: 1-line block ×3, first 2 shown]
	v_sub_f16_e32 v25, v25, v36
	v_sub_f16_e32 v36, v79, v80
	;; [unrolled: 1-line block ×3, first 2 shown]
	v_fma_f16 v69, v29, s0, v69
	v_fma_f16 v32, v25, s12, v32
	v_add_f16_e32 v36, v36, v94
	v_fma_f16 v69, v25, s1, v69
	v_fma_f16 v32, v36, s4, v32
	;; [unrolled: 1-line block ×3, first 2 shown]
	v_add_f16_e32 v69, v79, v82
	v_add_f16_e32 v43, v78, v79
	v_fma_f16 v69, v69, -0.5, v78
	v_add_f16_e32 v43, v43, v80
	v_fma_f16 v78, v25, s0, v69
	v_sub_f16_e32 v79, v80, v79
	v_sub_f16_e32 v80, v81, v82
	v_fma_f16 v25, v25, s5, v69
	v_fma_f16 v78, v29, s12, v78
	v_add_f16_e32 v79, v79, v80
	v_fma_f16 v25, v29, s1, v25
	v_add_f16_e32 v69, v26, v37
	v_add_f16_e32 v43, v43, v81
	v_fma_f16 v78, v79, s4, v78
	v_fma_f16 v25, v79, s4, v25
	v_fma_f16 v69, v69, -0.5, v21
	v_sub_f16_e32 v79, v84, v40
	v_add_f16_e32 v43, v43, v82
	v_fma_f16 v80, v79, s0, v69
	v_sub_f16_e32 v81, v85, v86
	v_sub_f16_e32 v82, v33, v26
	;; [unrolled: 1-line block ×3, first 2 shown]
	v_fma_f16 v69, v79, s5, v69
	v_fma_f16 v80, v81, s1, v80
	v_add_f16_e32 v82, v82, v94
	v_fma_f16 v69, v81, s12, v69
	v_fma_f16 v80, v82, s4, v80
	v_fma_f16 v82, v82, s4, v69
	v_add_f16_e32 v69, v33, v88
	v_add_f16_e32 v29, v21, v33
	v_fma_f16 v21, v69, -0.5, v21
	v_fma_f16 v69, v81, s5, v21
	v_sub_f16_e32 v94, v26, v33
	v_sub_f16_e32 v95, v37, v88
	v_fma_f16 v69, v79, s1, v69
	v_add_f16_e32 v94, v94, v95
	v_fma_f16 v95, v94, s4, v69
	v_add_f16_e32 v69, v83, v84
	v_add_f16_e32 v69, v69, v85
	v_fma_f16 v21, v81, s0, v21
	v_add_f16_e32 v69, v69, v86
	v_fma_f16 v21, v79, s12, v21
	v_add_f16_e32 v79, v69, v40
	v_add_f16_e32 v69, v85, v86
	;; [unrolled: 1-line block ×3, first 2 shown]
	v_fma_f16 v69, v69, -0.5, v83
	v_sub_f16_e32 v33, v33, v88
	v_add_f16_e32 v29, v29, v37
	v_fma_f16 v81, v33, s5, v69
	v_sub_f16_e32 v26, v26, v37
	v_add_f16_e32 v29, v29, v88
	v_fma_f16 v37, v26, s12, v81
	v_sub_f16_e32 v81, v84, v85
	v_sub_f16_e32 v88, v40, v86
	v_fma_f16 v69, v33, s0, v69
	v_add_f16_e32 v81, v81, v88
	v_fma_f16 v69, v26, s1, v69
	v_fma_f16 v37, v81, s4, v37
	v_fma_f16 v81, v81, s4, v69
	v_add_f16_e32 v69, v84, v40
	v_fma_f16 v69, v69, -0.5, v83
	v_fma_f16 v83, v26, s0, v69
	v_fma_f16 v26, v26, s5, v69
	;; [unrolled: 1-line block ×4, first 2 shown]
	v_pack_b32_f16 v33, v87, v90
	v_pack_b32_f16 v27, v91, v27
	ds_write2_b32 v46, v33, v27 offset1:13
	v_pack_b32_f16 v27, v93, v44
	v_pack_b32_f16 v19, v19, v22
	ds_write2_b32 v46, v27, v19 offset0:26 offset1:39
	v_pack_b32_f16 v19, v89, v28
	v_pack_b32_f16 v22, v24, v43
	ds_write2_b32 v46, v19, v22 offset0:52 offset1:65
	v_pack_b32_f16 v19, v63, v32
	v_pack_b32_f16 v22, v92, v78
	v_sub_f16_e32 v84, v85, v84
	v_sub_f16_e32 v40, v86, v40
	ds_write2_b32 v46, v19, v22 offset0:78 offset1:91
	v_pack_b32_f16 v19, v20, v25
	v_pack_b32_f16 v20, v42, v36
	v_add_f16_e32 v40, v84, v40
	ds_write2_b32 v46, v19, v20 offset0:104 offset1:117
	v_and_b32_e32 v19, 0xff, v38
	v_fma_f16 v21, v94, s4, v21
	v_fma_f16 v83, v40, s4, v83
	;; [unrolled: 1-line block ×3, first 2 shown]
	v_lshl_add_u32 v69, v19, 2, v62
	v_pack_b32_f16 v19, v29, v79
	v_pack_b32_f16 v20, v80, v37
	ds_write2_b32 v69, v19, v20 offset0:130 offset1:143
	v_pack_b32_f16 v19, v95, v83
	v_pack_b32_f16 v20, v21, v26
	ds_write2_b32 v69, v19, v20 offset0:156 offset1:169
	v_pack_b32_f16 v19, v82, v81
	ds_write_b32 v69, v19 offset:728
	v_sub_co_u32_e64 v19, s[0:1], v30, v39
	v_subbrev_co_u32_e64 v20, s[0:1], 0, v41, s[0:1]
	s_waitcnt lgkmcnt(0)
	; wave barrier
	s_waitcnt lgkmcnt(0)
	global_load_dwordx2 v[19:20], v[19:20], off offset:208
	v_lshlrev_b32_e32 v21, 3, v23
	global_load_dwordx2 v[21:22], v21, s[2:3] offset:208
	v_lshlrev_b32_e32 v23, 3, v34
	global_load_dwordx2 v[23:24], v23, s[2:3] offset:208
	v_add_u32_e32 v25, 0x138, v39
	global_load_dwordx2 v[25:26], v25, s[2:3] offset:208
	v_add_u32_e32 v27, 0x1a0, v39
	global_load_dwordx2 v[27:28], v27, s[2:3] offset:208
	ds_read2_b32 v[29:30], v46 offset1:13
	ds_read2_b32 v[32:33], v46 offset0:52 offset1:65
	ds_read2_b32 v[36:37], v46 offset0:130 offset1:143
	ds_read2_b32 v[38:39], v46 offset0:78 offset1:91
	ds_read2_b32 v[42:43], v46 offset0:156 offset1:169
	ds_read2_b32 v[78:79], v46 offset0:104 offset1:117
	s_waitcnt lgkmcnt(4)
	v_lshrrev_b32_e32 v44, 16, v33
	s_waitcnt lgkmcnt(3)
	v_lshrrev_b32_e32 v63, 16, v36
	;; [unrolled: 2-line block ×3, first 2 shown]
	v_lshrrev_b32_e32 v82, 16, v37
	v_lshrrev_b32_e32 v84, 16, v39
	s_waitcnt lgkmcnt(1)
	v_lshrrev_b32_e32 v85, 16, v42
	s_waitcnt lgkmcnt(0)
	v_lshrrev_b32_e32 v88, 16, v78
	ds_read_b32 v87, v46 offset:728
	v_lshrrev_b32_e32 v89, 16, v43
	v_lshrrev_b32_e32 v91, 16, v79
	;; [unrolled: 1-line block ×3, first 2 shown]
	s_movk_i32 s0, 0x3aee
	s_waitcnt lgkmcnt(0)
	v_lshrrev_b32_e32 v92, 16, v87
	s_mov_b32 s1, 0xbaee
	ds_read2_b32 v[40:41], v46 offset0:26 offset1:39
	v_lshrrev_b32_e32 v80, 16, v30
	v_lshrrev_b32_e32 v90, 16, v32
	s_waitcnt lgkmcnt(0)
	v_lshrrev_b32_e32 v83, 16, v40
	v_lshrrev_b32_e32 v86, 16, v41
	s_waitcnt vmcnt(4)
	v_mul_f16_sdwa v93, v44, v19 dst_sel:DWORD dst_unused:UNUSED_PAD src0_sel:DWORD src1_sel:WORD_1
	v_fma_f16 v93, v33, v19, -v93
	v_mul_f16_sdwa v33, v33, v19 dst_sel:DWORD dst_unused:UNUSED_PAD src0_sel:DWORD src1_sel:WORD_1
	v_fma_f16 v33, v44, v19, v33
	v_mul_f16_sdwa v44, v63, v20 dst_sel:DWORD dst_unused:UNUSED_PAD src0_sel:DWORD src1_sel:WORD_1
	v_fma_f16 v44, v36, v20, -v44
	v_mul_f16_sdwa v36, v36, v20 dst_sel:DWORD dst_unused:UNUSED_PAD src0_sel:DWORD src1_sel:WORD_1
	v_fma_f16 v36, v63, v20, v36
	s_waitcnt vmcnt(3)
	v_mul_f16_sdwa v63, v81, v21 dst_sel:DWORD dst_unused:UNUSED_PAD src0_sel:DWORD src1_sel:WORD_1
	v_fma_f16 v63, v38, v21, -v63
	v_mul_f16_sdwa v38, v38, v21 dst_sel:DWORD dst_unused:UNUSED_PAD src0_sel:DWORD src1_sel:WORD_1
	v_fma_f16 v38, v81, v21, v38
	v_mul_f16_sdwa v81, v82, v22 dst_sel:DWORD dst_unused:UNUSED_PAD src0_sel:DWORD src1_sel:WORD_1
	v_fma_f16 v81, v37, v22, -v81
	v_mul_f16_sdwa v37, v37, v22 dst_sel:DWORD dst_unused:UNUSED_PAD src0_sel:DWORD src1_sel:WORD_1
	v_fma_f16 v37, v82, v22, v37
	s_waitcnt vmcnt(2)
	v_mul_f16_sdwa v82, v84, v23 dst_sel:DWORD dst_unused:UNUSED_PAD src0_sel:DWORD src1_sel:WORD_1
	v_fma_f16 v82, v39, v23, -v82
	v_mul_f16_sdwa v39, v39, v23 dst_sel:DWORD dst_unused:UNUSED_PAD src0_sel:DWORD src1_sel:WORD_1
	v_fma_f16 v39, v84, v23, v39
	v_mul_f16_sdwa v84, v85, v24 dst_sel:DWORD dst_unused:UNUSED_PAD src0_sel:DWORD src1_sel:WORD_1
	v_fma_f16 v84, v42, v24, -v84
	v_mul_f16_sdwa v42, v42, v24 dst_sel:DWORD dst_unused:UNUSED_PAD src0_sel:DWORD src1_sel:WORD_1
	v_fma_f16 v42, v85, v24, v42
	s_waitcnt vmcnt(1)
	v_mul_f16_sdwa v85, v88, v25 dst_sel:DWORD dst_unused:UNUSED_PAD src0_sel:DWORD src1_sel:WORD_1
	v_fma_f16 v85, v78, v25, -v85
	v_mul_f16_sdwa v78, v78, v25 dst_sel:DWORD dst_unused:UNUSED_PAD src0_sel:DWORD src1_sel:WORD_1
	v_fma_f16 v78, v88, v25, v78
	v_mul_f16_sdwa v88, v89, v26 dst_sel:DWORD dst_unused:UNUSED_PAD src0_sel:DWORD src1_sel:WORD_1
	v_fma_f16 v88, v43, v26, -v88
	v_mul_f16_sdwa v43, v43, v26 dst_sel:DWORD dst_unused:UNUSED_PAD src0_sel:DWORD src1_sel:WORD_1
	v_fma_f16 v43, v89, v26, v43
	s_waitcnt vmcnt(0)
	v_mul_f16_sdwa v89, v91, v27 dst_sel:DWORD dst_unused:UNUSED_PAD src0_sel:DWORD src1_sel:WORD_1
	v_fma_f16 v89, v79, v27, -v89
	v_mul_f16_sdwa v79, v79, v27 dst_sel:DWORD dst_unused:UNUSED_PAD src0_sel:DWORD src1_sel:WORD_1
	v_fma_f16 v79, v91, v27, v79
	v_mul_f16_sdwa v91, v92, v28 dst_sel:DWORD dst_unused:UNUSED_PAD src0_sel:DWORD src1_sel:WORD_1
	v_fma_f16 v91, v87, v28, -v91
	v_mul_f16_sdwa v87, v87, v28 dst_sel:DWORD dst_unused:UNUSED_PAD src0_sel:DWORD src1_sel:WORD_1
	v_add_f16_e32 v94, v93, v44
	v_fma_f16 v87, v92, v28, v87
	v_add_f16_e32 v92, v29, v93
	v_fma_f16 v29, v94, -0.5, v29
	v_sub_f16_e32 v94, v33, v36
	v_fma_f16 v95, v94, s0, v29
	v_fma_f16 v94, v94, s1, v29
	v_add_f16_e32 v29, v34, v33
	v_add_f16_e32 v96, v29, v36
	;; [unrolled: 1-line block ×3, first 2 shown]
	v_fma_f16 v29, v29, -0.5, v34
	v_sub_f16_e32 v33, v93, v44
	v_fma_f16 v34, v33, s1, v29
	v_fma_f16 v33, v33, s0, v29
	v_add_f16_e32 v29, v30, v63
	v_add_f16_e32 v36, v29, v81
	;; [unrolled: 1-line block ×3, first 2 shown]
	v_fma_f16 v29, v29, -0.5, v30
	v_sub_f16_e32 v30, v38, v37
	v_add_f16_e32 v92, v92, v44
	v_fma_f16 v44, v30, s0, v29
	v_fma_f16 v93, v30, s1, v29
	v_add_f16_e32 v29, v80, v38
	v_add_f16_e32 v97, v29, v37
	v_add_f16_e32 v29, v38, v37
	v_fma_f16 v29, v29, -0.5, v80
	v_sub_f16_e32 v30, v63, v81
	v_fma_f16 v37, v30, s1, v29
	v_fma_f16 v38, v30, s0, v29
	v_add_f16_e32 v29, v40, v82
	v_add_f16_e32 v81, v29, v84
	v_add_f16_e32 v29, v82, v84
	v_fma_f16 v29, v29, -0.5, v40
	v_sub_f16_e32 v30, v39, v42
	;; [unrolled: 7-line block ×6, first 2 shown]
	v_add_f16_e32 v63, v79, v87
	v_fma_f16 v29, v32, s0, v30
	v_fma_f16 v30, v32, s1, v30
	v_add_f16_e32 v32, v90, v79
	v_fma_f16 v63, v63, -0.5, v90
	v_sub_f16_e32 v79, v89, v91
	v_fma_f16 v78, v79, s1, v63
	v_fma_f16 v80, v79, s0, v63
	v_pack_b32_f16 v63, v92, v96
	ds_write_b32 v46, v63
	v_lshl_add_u32 v63, v45, 2, v62
	v_pack_b32_f16 v34, v95, v34
	v_pack_b32_f16 v37, v44, v37
	;; [unrolled: 1-line block ×3, first 2 shown]
	ds_write2_b32 v63, v34, v37 offset0:65 offset1:78
	v_pack_b32_f16 v34, v93, v38
	v_pack_b32_f16 v36, v36, v97
	ds_write2_b32 v63, v33, v34 offset0:130 offset1:143
	v_pack_b32_f16 v33, v81, v99
	v_add_f16_e32 v32, v32, v87
	ds_write2_b32 v63, v36, v33 offset0:13 offset1:26
	v_pack_b32_f16 v33, v40, v39
	v_pack_b32_f16 v37, v41, v43
	;; [unrolled: 1-line block ×4, first 2 shown]
	ds_write2_b32 v63, v33, v37 offset0:91 offset1:104
	v_pack_b32_f16 v33, v83, v85
	v_pack_b32_f16 v32, v86, v32
	ds_write2_b32 v63, v34, v33 offset0:156 offset1:169
	ds_write2_b32 v63, v36, v32 offset0:39 offset1:52
	v_pack_b32_f16 v32, v29, v78
	v_pack_b32_f16 v33, v30, v80
	ds_write2_b32 v46, v32, v33 offset0:117 offset1:182
	s_waitcnt lgkmcnt(0)
	; wave barrier
	s_waitcnt lgkmcnt(0)
	global_load_dword v34, v[8:9], off offset:780
	s_add_u32 s0, s16, 0x30c
	s_addc_u32 s1, s17, 0
	global_load_dword v38, v35, s[0:1] offset:60
	global_load_dword v39, v35, s[0:1] offset:120
	;; [unrolled: 1-line block ×10, first 2 shown]
	ds_read2_b32 v[32:33], v46 offset1:15
	global_load_dword v83, v35, s[0:1] offset:660
	s_waitcnt lgkmcnt(0)
	v_lshrrev_b32_e32 v36, 16, v32
	v_lshrrev_b32_e32 v84, 16, v33
	s_waitcnt vmcnt(11)
	v_mul_f16_sdwa v37, v36, v34 dst_sel:DWORD dst_unused:UNUSED_PAD src0_sel:DWORD src1_sel:WORD_1
	v_fma_f16 v37, v32, v34, -v37
	v_mul_f16_sdwa v32, v32, v34 dst_sel:DWORD dst_unused:UNUSED_PAD src0_sel:DWORD src1_sel:WORD_1
	v_fma_f16 v32, v36, v34, v32
	global_load_dword v34, v35, s[0:1] offset:720
	s_waitcnt vmcnt(11)
	v_mul_f16_sdwa v36, v84, v38 dst_sel:DWORD dst_unused:UNUSED_PAD src0_sel:DWORD src1_sel:WORD_1
	v_pack_b32_f16 v32, v37, v32
	v_fma_f16 v85, v33, v38, -v36
	ds_read2_b32 v[36:37], v46 offset0:30 offset1:45
	v_mul_f16_sdwa v33, v33, v38 dst_sel:DWORD dst_unused:UNUSED_PAD src0_sel:DWORD src1_sel:WORD_1
	v_fma_f16 v33, v84, v38, v33
	v_pack_b32_f16 v33, v85, v33
	ds_write2_b32 v46, v32, v33 offset1:15
	s_waitcnt lgkmcnt(1)
	v_lshrrev_b32_e32 v32, 16, v36
	s_waitcnt vmcnt(10)
	v_mul_f16_sdwa v33, v32, v39 dst_sel:DWORD dst_unused:UNUSED_PAD src0_sel:DWORD src1_sel:WORD_1
	v_fma_f16 v33, v36, v39, -v33
	v_mul_f16_sdwa v36, v36, v39 dst_sel:DWORD dst_unused:UNUSED_PAD src0_sel:DWORD src1_sel:WORD_1
	v_fma_f16 v32, v32, v39, v36
	v_lshrrev_b32_e32 v38, 16, v37
	v_pack_b32_f16 v36, v33, v32
	s_waitcnt vmcnt(9)
	v_mul_f16_sdwa v32, v38, v40 dst_sel:DWORD dst_unused:UNUSED_PAD src0_sel:DWORD src1_sel:WORD_1
	v_fma_f16 v39, v37, v40, -v32
	ds_read2_b32 v[32:33], v46 offset0:60 offset1:75
	v_mul_f16_sdwa v37, v37, v40 dst_sel:DWORD dst_unused:UNUSED_PAD src0_sel:DWORD src1_sel:WORD_1
	v_fma_f16 v37, v38, v40, v37
	v_pack_b32_f16 v37, v39, v37
	ds_write2_b32 v46, v36, v37 offset0:30 offset1:45
	s_waitcnt lgkmcnt(1)
	v_lshrrev_b32_e32 v36, 16, v32
	s_waitcnt vmcnt(8)
	v_mul_f16_sdwa v37, v36, v41 dst_sel:DWORD dst_unused:UNUSED_PAD src0_sel:DWORD src1_sel:WORD_1
	v_fma_f16 v37, v32, v41, -v37
	v_mul_f16_sdwa v32, v32, v41 dst_sel:DWORD dst_unused:UNUSED_PAD src0_sel:DWORD src1_sel:WORD_1
	v_lshrrev_b32_e32 v38, 16, v33
	v_fma_f16 v32, v36, v41, v32
	s_waitcnt vmcnt(7)
	v_mul_f16_sdwa v36, v38, v42 dst_sel:DWORD dst_unused:UNUSED_PAD src0_sel:DWORD src1_sel:WORD_1
	v_pack_b32_f16 v32, v37, v32
	v_fma_f16 v39, v33, v42, -v36
	ds_read2_b32 v[36:37], v46 offset0:90 offset1:105
	v_mul_f16_sdwa v33, v33, v42 dst_sel:DWORD dst_unused:UNUSED_PAD src0_sel:DWORD src1_sel:WORD_1
	v_fma_f16 v33, v38, v42, v33
	v_pack_b32_f16 v33, v39, v33
	ds_write2_b32 v46, v32, v33 offset0:60 offset1:75
	s_waitcnt lgkmcnt(1)
	v_lshrrev_b32_e32 v32, 16, v36
	s_waitcnt vmcnt(6)
	v_mul_f16_sdwa v33, v32, v43 dst_sel:DWORD dst_unused:UNUSED_PAD src0_sel:DWORD src1_sel:WORD_1
	v_fma_f16 v33, v36, v43, -v33
	v_mul_f16_sdwa v36, v36, v43 dst_sel:DWORD dst_unused:UNUSED_PAD src0_sel:DWORD src1_sel:WORD_1
	v_fma_f16 v32, v32, v43, v36
	v_lshrrev_b32_e32 v38, 16, v37
	v_pack_b32_f16 v36, v33, v32
	s_waitcnt vmcnt(5)
	v_mul_f16_sdwa v32, v38, v44 dst_sel:DWORD dst_unused:UNUSED_PAD src0_sel:DWORD src1_sel:WORD_1
	v_fma_f16 v39, v37, v44, -v32
	ds_read2_b32 v[32:33], v46 offset0:120 offset1:135
	v_mul_f16_sdwa v37, v37, v44 dst_sel:DWORD dst_unused:UNUSED_PAD src0_sel:DWORD src1_sel:WORD_1
	v_fma_f16 v37, v38, v44, v37
	v_pack_b32_f16 v37, v39, v37
	ds_write2_b32 v46, v36, v37 offset0:90 offset1:105
	s_waitcnt lgkmcnt(1)
	v_lshrrev_b32_e32 v36, 16, v32
	s_waitcnt vmcnt(4)
	v_mul_f16_sdwa v37, v36, v79 dst_sel:DWORD dst_unused:UNUSED_PAD src0_sel:DWORD src1_sel:WORD_1
	v_fma_f16 v37, v32, v79, -v37
	v_mul_f16_sdwa v32, v32, v79 dst_sel:DWORD dst_unused:UNUSED_PAD src0_sel:DWORD src1_sel:WORD_1
	v_lshrrev_b32_e32 v38, 16, v33
	v_fma_f16 v32, v36, v79, v32
	s_waitcnt vmcnt(3)
	v_mul_f16_sdwa v36, v38, v81 dst_sel:DWORD dst_unused:UNUSED_PAD src0_sel:DWORD src1_sel:WORD_1
	v_pack_b32_f16 v32, v37, v32
	v_fma_f16 v39, v33, v81, -v36
	ds_read2_b32 v[36:37], v46 offset0:150 offset1:165
	v_mul_f16_sdwa v33, v33, v81 dst_sel:DWORD dst_unused:UNUSED_PAD src0_sel:DWORD src1_sel:WORD_1
	v_fma_f16 v33, v38, v81, v33
	v_pack_b32_f16 v33, v39, v33
	ds_write2_b32 v46, v32, v33 offset0:120 offset1:135
	s_waitcnt lgkmcnt(1)
	v_lshrrev_b32_e32 v32, 16, v36
	s_waitcnt vmcnt(2)
	v_mul_f16_sdwa v33, v32, v82 dst_sel:DWORD dst_unused:UNUSED_PAD src0_sel:DWORD src1_sel:WORD_1
	v_fma_f16 v33, v36, v82, -v33
	v_mul_f16_sdwa v36, v36, v82 dst_sel:DWORD dst_unused:UNUSED_PAD src0_sel:DWORD src1_sel:WORD_1
	v_fma_f16 v32, v32, v82, v36
	v_pack_b32_f16 v32, v33, v32
	v_lshrrev_b32_e32 v33, 16, v37
	ds_read_b32 v38, v46 offset:720
	s_waitcnt vmcnt(1)
	v_mul_f16_sdwa v36, v33, v83 dst_sel:DWORD dst_unused:UNUSED_PAD src0_sel:DWORD src1_sel:WORD_1
	v_fma_f16 v36, v37, v83, -v36
	v_mul_f16_sdwa v37, v37, v83 dst_sel:DWORD dst_unused:UNUSED_PAD src0_sel:DWORD src1_sel:WORD_1
	v_fma_f16 v33, v33, v83, v37
	v_pack_b32_f16 v33, v36, v33
	ds_write2_b32 v46, v32, v33 offset0:150 offset1:165
	s_waitcnt lgkmcnt(1)
	v_lshrrev_b32_e32 v32, 16, v38
	s_waitcnt vmcnt(0)
	v_mul_f16_sdwa v33, v32, v34 dst_sel:DWORD dst_unused:UNUSED_PAD src0_sel:DWORD src1_sel:WORD_1
	v_mul_f16_sdwa v36, v38, v34 dst_sel:DWORD dst_unused:UNUSED_PAD src0_sel:DWORD src1_sel:WORD_1
	v_fma_f16 v33, v38, v34, -v33
	v_fma_f16 v32, v32, v34, v36
	v_pack_b32_f16 v32, v33, v32
	ds_write_b32 v46, v32 offset:720
	s_and_saveexec_b64 s[2:3], vcc
	s_cbranch_execz .LBB0_9
; %bb.8:
	v_mov_b32_e32 v33, s1
	v_add_co_u32_e64 v32, s[0:1], s0, v35
	v_addc_co_u32_e64 v33, s[0:1], 0, v33, s[0:1]
	global_load_dword v34, v[32:33], off offset:52
	global_load_dword v44, v[32:33], off offset:112
	;; [unrolled: 1-line block ×11, first 2 shown]
	ds_read_b32 v35, v63 offset:52
	global_load_dword v89, v[32:33], off offset:712
	global_load_dword v90, v[32:33], off offset:772
	s_waitcnt lgkmcnt(0)
	v_lshrrev_b32_e32 v32, 16, v35
	s_waitcnt vmcnt(12)
	v_mul_f16_sdwa v33, v32, v34 dst_sel:DWORD dst_unused:UNUSED_PAD src0_sel:DWORD src1_sel:WORD_1
	v_mul_f16_sdwa v36, v35, v34 dst_sel:DWORD dst_unused:UNUSED_PAD src0_sel:DWORD src1_sel:WORD_1
	v_fma_f16 v33, v35, v34, -v33
	v_fma_f16 v32, v32, v34, v36
	v_pack_b32_f16 v32, v33, v32
	ds_write_b32 v63, v32 offset:52
	ds_read2_b32 v[32:33], v46 offset0:28 offset1:43
	ds_read2_b32 v[34:35], v46 offset0:58 offset1:73
	ds_read2_b32 v[36:37], v46 offset0:88 offset1:103
	ds_read2_b32 v[38:39], v46 offset0:118 offset1:133
	ds_read2_b32 v[40:41], v46 offset0:148 offset1:163
	ds_read2_b32 v[42:43], v46 offset0:178 offset1:193
	s_waitcnt lgkmcnt(5)
	v_lshrrev_b32_e32 v91, 16, v32
	s_waitcnt vmcnt(11)
	v_mul_f16_sdwa v92, v32, v44 dst_sel:DWORD dst_unused:UNUSED_PAD src0_sel:DWORD src1_sel:WORD_1
	v_lshrrev_b32_e32 v93, 16, v33
	s_waitcnt vmcnt(10)
	v_mul_f16_sdwa v94, v33, v79 dst_sel:DWORD dst_unused:UNUSED_PAD src0_sel:DWORD src1_sel:WORD_1
	s_waitcnt lgkmcnt(4)
	v_lshrrev_b32_e32 v95, 16, v34
	s_waitcnt vmcnt(9)
	v_mul_f16_sdwa v96, v34, v81 dst_sel:DWORD dst_unused:UNUSED_PAD src0_sel:DWORD src1_sel:WORD_1
	v_lshrrev_b32_e32 v97, 16, v35
	s_waitcnt vmcnt(8)
	v_mul_f16_sdwa v98, v35, v82 dst_sel:DWORD dst_unused:UNUSED_PAD src0_sel:DWORD src1_sel:WORD_1
	;; [unrolled: 7-line block ×4, first 2 shown]
	s_waitcnt lgkmcnt(1)
	v_lshrrev_b32_e32 v107, 16, v40
	s_waitcnt vmcnt(3)
	v_mul_f16_sdwa v108, v40, v87 dst_sel:DWORD dst_unused:UNUSED_PAD src0_sel:DWORD src1_sel:WORD_1
	v_lshrrev_b32_e32 v109, 16, v41
	v_mul_f16_sdwa v111, v91, v44 dst_sel:DWORD dst_unused:UNUSED_PAD src0_sel:DWORD src1_sel:WORD_1
	v_fma_f16 v91, v91, v44, v92
	v_mul_f16_sdwa v92, v93, v79 dst_sel:DWORD dst_unused:UNUSED_PAD src0_sel:DWORD src1_sel:WORD_1
	s_waitcnt vmcnt(2)
	v_mul_f16_sdwa v110, v41, v88 dst_sel:DWORD dst_unused:UNUSED_PAD src0_sel:DWORD src1_sel:WORD_1
	v_fma_f16 v93, v93, v79, v94
	v_mul_f16_sdwa v94, v95, v81 dst_sel:DWORD dst_unused:UNUSED_PAD src0_sel:DWORD src1_sel:WORD_1
	v_fma_f16 v95, v95, v81, v96
	v_mul_f16_sdwa v96, v97, v82 dst_sel:DWORD dst_unused:UNUSED_PAD src0_sel:DWORD src1_sel:WORD_1
	v_fma_f16 v97, v97, v82, v98
	v_mul_f16_sdwa v98, v99, v83 dst_sel:DWORD dst_unused:UNUSED_PAD src0_sel:DWORD src1_sel:WORD_1
	v_fma_f16 v99, v99, v83, v100
	v_mul_f16_sdwa v100, v101, v84 dst_sel:DWORD dst_unused:UNUSED_PAD src0_sel:DWORD src1_sel:WORD_1
	v_fma_f16 v101, v101, v84, v102
	v_mul_f16_sdwa v102, v103, v85 dst_sel:DWORD dst_unused:UNUSED_PAD src0_sel:DWORD src1_sel:WORD_1
	v_fma_f16 v103, v103, v85, v104
	v_mul_f16_sdwa v104, v105, v86 dst_sel:DWORD dst_unused:UNUSED_PAD src0_sel:DWORD src1_sel:WORD_1
	v_fma_f16 v105, v105, v86, v106
	v_mul_f16_sdwa v106, v107, v87 dst_sel:DWORD dst_unused:UNUSED_PAD src0_sel:DWORD src1_sel:WORD_1
	v_fma_f16 v107, v107, v87, v108
	v_mul_f16_sdwa v108, v109, v88 dst_sel:DWORD dst_unused:UNUSED_PAD src0_sel:DWORD src1_sel:WORD_1
	v_fma_f16 v32, v32, v44, -v111
	v_fma_f16 v33, v33, v79, -v92
	v_fma_f16 v109, v109, v88, v110
	v_fma_f16 v34, v34, v81, -v94
	v_fma_f16 v35, v35, v82, -v96
	;; [unrolled: 1-line block ×8, first 2 shown]
	v_pack_b32_f16 v32, v32, v91
	v_pack_b32_f16 v33, v33, v93
	;; [unrolled: 1-line block ×10, first 2 shown]
	ds_write2_b32 v46, v32, v33 offset0:28 offset1:43
	ds_write2_b32 v46, v34, v35 offset0:58 offset1:73
	;; [unrolled: 1-line block ×5, first 2 shown]
	s_waitcnt lgkmcnt(5)
	v_lshrrev_b32_e32 v32, 16, v42
	s_waitcnt vmcnt(1)
	v_mul_f16_sdwa v33, v32, v89 dst_sel:DWORD dst_unused:UNUSED_PAD src0_sel:DWORD src1_sel:WORD_1
	v_mul_f16_sdwa v34, v42, v89 dst_sel:DWORD dst_unused:UNUSED_PAD src0_sel:DWORD src1_sel:WORD_1
	v_fma_f16 v33, v42, v89, -v33
	v_fma_f16 v32, v32, v89, v34
	v_pack_b32_f16 v32, v33, v32
	v_lshrrev_b32_e32 v33, 16, v43
	s_waitcnt vmcnt(0)
	v_mul_f16_sdwa v34, v33, v90 dst_sel:DWORD dst_unused:UNUSED_PAD src0_sel:DWORD src1_sel:WORD_1
	v_mul_f16_sdwa v35, v43, v90 dst_sel:DWORD dst_unused:UNUSED_PAD src0_sel:DWORD src1_sel:WORD_1
	v_fma_f16 v34, v43, v90, -v34
	v_fma_f16 v33, v33, v90, v35
	v_pack_b32_f16 v33, v34, v33
	ds_write2_b32 v46, v32, v33 offset0:178 offset1:193
.LBB0_9:
	s_or_b64 exec, exec, s[2:3]
	s_waitcnt lgkmcnt(0)
	; wave barrier
	s_waitcnt lgkmcnt(0)
	ds_read2_b32 v[33:34], v46 offset1:15
	ds_read2_b32 v[41:42], v46 offset0:30 offset1:45
	ds_read2_b32 v[37:38], v46 offset0:60 offset1:75
	;; [unrolled: 1-line block ×5, first 2 shown]
	ds_read_b32 v81, v46 offset:720
	v_lshrrev_b32_e32 v32, 16, v76
	s_and_saveexec_b64 s[0:1], vcc
	s_cbranch_execz .LBB0_11
; %bb.10:
	ds_read2_b32 v[29:30], v63 offset0:13 offset1:28
	ds_read2_b32 v[11:12], v63 offset0:43 offset1:58
	;; [unrolled: 1-line block ×6, first 2 shown]
	ds_read_b32 v72, v63 offset:772
	s_mov_b32 s2, 0xffff
	s_waitcnt lgkmcnt(6)
	v_lshrrev_b32_e32 v78, 16, v29
	v_lshrrev_b32_e32 v80, 16, v30
	s_waitcnt lgkmcnt(5)
	v_lshrrev_b32_e32 v66, 16, v11
	v_lshrrev_b32_e32 v67, 16, v12
	;; [unrolled: 3-line block ×6, first 2 shown]
	s_waitcnt lgkmcnt(0)
	v_bfi_b32 v31, s2, v31, v72
.LBB0_11:
	s_or_b64 exec, exec, s[0:1]
	s_waitcnt lgkmcnt(6)
	v_pk_add_f16 v82, v33, v34
	s_waitcnt lgkmcnt(5)
	v_pk_add_f16 v82, v82, v41
	v_pk_add_f16 v82, v82, v42
	s_waitcnt lgkmcnt(4)
	v_pk_add_f16 v82, v82, v37
	;; [unrolled: 3-line block ×6, first 2 shown]
	v_pk_add_f16 v34, v34, v81 neg_lo:[0,1] neg_hi:[0,1]
	s_mov_b32 s4, 0xb770
	v_pk_add_f16 v82, v82, v81
	v_pk_mul_f16 v81, v34, s4 op_sel_hi:[1,0]
	s_movk_i32 s2, 0x3b15
	s_mov_b32 s5, 0xba95
	v_pk_add_f16 v102, v44, v41
	v_pk_add_f16 v41, v41, v44 neg_lo:[0,1] neg_hi:[0,1]
	v_pk_fma_f16 v84, v83, s2, v81 op_sel:[0,0,1] op_sel_hi:[1,0,0]
	v_pk_fma_f16 v81, v83, s2, v81 op_sel:[0,0,1] op_sel_hi:[1,0,0] neg_lo:[0,0,1] neg_hi:[0,0,1]
	s_mov_b32 s0, 0xffff
	s_movk_i32 s3, 0x388b
	v_pk_mul_f16 v44, v41, s5 op_sel_hi:[1,0]
	v_bfi_b32 v85, s0, v84, v81
	v_pk_fma_f16 v103, v102, s3, v44 op_sel:[0,0,1] op_sel_hi:[1,0,0]
	v_pk_fma_f16 v44, v102, s3, v44 op_sel:[0,0,1] op_sel_hi:[1,0,0] neg_lo:[0,0,1] neg_hi:[0,0,1]
	v_pk_add_f16 v85, v33, v85
	v_mul_f16_sdwa v86, v34, s5 dst_sel:DWORD dst_unused:UNUSED_PAD src0_sel:WORD_1 src1_sel:DWORD
	s_mov_b32 s15, 0xbb7b
	v_bfi_b32 v104, s0, v103, v44
	v_fma_f16 v87, v83, s3, v86
	s_mov_b32 s14, 0xb5ac
	v_pk_add_f16 v85, v104, v85
	v_mul_f16_sdwa v104, v41, s15 dst_sel:DWORD dst_unused:UNUSED_PAD src0_sel:WORD_1 src1_sel:DWORD
	v_add_f16_e32 v87, v33, v87
	v_mul_f16_sdwa v88, v83, s3 dst_sel:DWORD dst_unused:UNUSED_PAD src0_sel:WORD_1 src1_sel:DWORD
	s_movk_i32 s22, 0x3a95
	v_fma_f16 v86, v83, s3, -v86
	v_fma_f16 v105, v102, s14, v104
	v_fma_f16 v89, v34, s22, v88
	v_add_f16_e32 v86, v33, v86
	v_fma_f16 v88, v34, s5, v88
	s_mov_b32 s13, 0xbbf1
	v_add_f16_e32 v87, v105, v87
	v_mul_f16_sdwa v105, v102, s14 dst_sel:DWORD dst_unused:UNUSED_PAD src0_sel:WORD_1 src1_sel:DWORD
	v_fma_f16 v104, v102, s14, -v104
	v_add_f16_sdwa v88, v33, v88 dst_sel:DWORD dst_unused:UNUSED_PAD src0_sel:WORD_1 src1_sel:DWORD
	v_mul_f16_sdwa v90, v34, s13 dst_sel:DWORD dst_unused:UNUSED_PAD src0_sel:WORD_1 src1_sel:DWORD
	s_movk_i32 s12, 0x2fb7
	v_add_f16_e32 v86, v104, v86
	v_fma_f16 v104, v41, s15, v105
	s_mov_b32 s20, 0xb3a8
	v_fma_f16 v91, v83, s12, v90
	s_movk_i32 s23, 0x3b7b
	v_add_f16_e32 v88, v104, v88
	v_mul_f16_sdwa v104, v41, s20 dst_sel:DWORD dst_unused:UNUSED_PAD src0_sel:WORD_1 src1_sel:DWORD
	s_mov_b32 s19, 0xbbc4
	v_add_f16_e32 v91, v33, v91
	v_mul_f16_sdwa v92, v83, s12 dst_sel:DWORD dst_unused:UNUSED_PAD src0_sel:WORD_1 src1_sel:DWORD
	s_movk_i32 s18, 0x3bf1
	v_fma_f16 v90, v83, s12, -v90
	v_fma_f16 v106, v41, s23, v105
	v_fma_f16 v105, v102, s19, v104
	v_fma_f16 v93, v34, s18, v92
	v_add_f16_e32 v90, v33, v90
	v_fma_f16 v92, v34, s13, v92
	v_add_f16_e32 v91, v105, v91
	v_mul_f16_sdwa v105, v102, s19 dst_sel:DWORD dst_unused:UNUSED_PAD src0_sel:WORD_1 src1_sel:DWORD
	v_fma_f16 v104, v102, s19, -v104
	v_add_f16_sdwa v92, v33, v92 dst_sel:DWORD dst_unused:UNUSED_PAD src0_sel:WORD_1 src1_sel:DWORD
	v_mul_f16_sdwa v94, v34, s15 dst_sel:DWORD dst_unused:UNUSED_PAD src0_sel:WORD_1 src1_sel:DWORD
	s_movk_i32 s21, 0x394e
	v_add_f16_e32 v90, v104, v90
	v_fma_f16 v104, v41, s20, v105
	v_add_f16_sdwa v89, v33, v89 dst_sel:DWORD dst_unused:UNUSED_PAD src0_sel:WORD_1 src1_sel:DWORD
	v_fma_f16 v95, v83, s14, v94
	s_mov_b32 s16, 0xb9fd
	s_movk_i32 s24, 0x33a8
	v_add_f16_e32 v92, v104, v92
	v_mul_f16_sdwa v104, v41, s21 dst_sel:DWORD dst_unused:UNUSED_PAD src0_sel:WORD_1 src1_sel:DWORD
	v_add_f16_e32 v95, v33, v95
	v_mul_f16_sdwa v96, v83, s14 dst_sel:DWORD dst_unused:UNUSED_PAD src0_sel:WORD_1 src1_sel:DWORD
	v_fma_f16 v94, v83, s14, -v94
	v_add_f16_e32 v89, v106, v89
	v_fma_f16 v106, v41, s24, v105
	v_fma_f16 v105, v102, s16, v104
	;; [unrolled: 1-line block ×3, first 2 shown]
	v_add_f16_e32 v94, v33, v94
	v_fma_f16 v96, v34, s15, v96
	s_mov_b32 s17, 0xb94e
	v_add_f16_e32 v95, v105, v95
	v_mul_f16_sdwa v105, v102, s16 dst_sel:DWORD dst_unused:UNUSED_PAD src0_sel:WORD_1 src1_sel:DWORD
	v_fma_f16 v104, v102, s16, -v104
	v_add_f16_sdwa v96, v33, v96 dst_sel:DWORD dst_unused:UNUSED_PAD src0_sel:WORD_1 src1_sel:DWORD
	v_mul_f16_sdwa v98, v34, s17 dst_sel:DWORD dst_unused:UNUSED_PAD src0_sel:WORD_1 src1_sel:DWORD
	v_add_f16_e32 v94, v104, v94
	v_fma_f16 v104, v41, s21, v105
	v_add_f16_sdwa v93, v33, v93 dst_sel:DWORD dst_unused:UNUSED_PAD src0_sel:WORD_1 src1_sel:DWORD
	v_fma_f16 v99, v83, s16, v98
	v_add_f16_e32 v96, v104, v96
	v_mul_f16_sdwa v104, v41, s18 dst_sel:DWORD dst_unused:UNUSED_PAD src0_sel:WORD_1 src1_sel:DWORD
	v_add_f16_e32 v99, v33, v99
	v_mul_f16_sdwa v100, v83, s16 dst_sel:DWORD dst_unused:UNUSED_PAD src0_sel:WORD_1 src1_sel:DWORD
	v_fma_f16 v98, v83, s16, -v98
	v_add_f16_e32 v93, v106, v93
	v_fma_f16 v106, v41, s17, v105
	v_fma_f16 v105, v102, s12, v104
	;; [unrolled: 1-line block ×3, first 2 shown]
	v_add_f16_e32 v98, v33, v98
	v_fma_f16 v100, v34, s17, v100
	v_add_f16_e32 v99, v105, v99
	v_mul_f16_sdwa v105, v102, s12 dst_sel:DWORD dst_unused:UNUSED_PAD src0_sel:WORD_1 src1_sel:DWORD
	v_fma_f16 v104, v102, s12, -v104
	v_add_f16_sdwa v100, v33, v100 dst_sel:DWORD dst_unused:UNUSED_PAD src0_sel:WORD_1 src1_sel:DWORD
	v_add_f16_e32 v98, v104, v98
	v_fma_f16 v104, v41, s18, v105
	v_add_f16_e32 v100, v104, v100
	v_pk_add_f16 v104, v43, v42
	v_pk_add_f16 v42, v42, v43 neg_lo:[0,1] neg_hi:[0,1]
	v_add_f16_sdwa v97, v33, v97 dst_sel:DWORD dst_unused:UNUSED_PAD src0_sel:WORD_1 src1_sel:DWORD
	v_pk_mul_f16 v43, v42, s13 op_sel_hi:[1,0]
	v_add_f16_sdwa v101, v33, v101 dst_sel:DWORD dst_unused:UNUSED_PAD src0_sel:WORD_1 src1_sel:DWORD
	v_add_f16_e32 v97, v106, v97
	v_fma_f16 v106, v41, s13, v105
	v_pk_fma_f16 v105, v104, s12, v43 op_sel:[0,0,1] op_sel_hi:[1,0,0]
	v_pk_fma_f16 v43, v104, s12, v43 op_sel:[0,0,1] op_sel_hi:[1,0,0] neg_lo:[0,0,1] neg_hi:[0,0,1]
	v_add_f16_e32 v101, v106, v101
	v_bfi_b32 v106, s0, v105, v43
	v_pk_add_f16 v85, v106, v85
	v_mul_f16_sdwa v106, v42, s20 dst_sel:DWORD dst_unused:UNUSED_PAD src0_sel:WORD_1 src1_sel:DWORD
	v_fma_f16 v107, v104, s19, v106
	v_add_f16_e32 v87, v107, v87
	v_mul_f16_sdwa v107, v104, s19 dst_sel:DWORD dst_unused:UNUSED_PAD src0_sel:WORD_1 src1_sel:DWORD
	v_fma_f16 v106, v104, s19, -v106
	v_add_f16_e32 v86, v106, v86
	v_fma_f16 v106, v42, s20, v107
	v_add_f16_e32 v88, v106, v88
	v_mul_f16_sdwa v106, v42, s23 dst_sel:DWORD dst_unused:UNUSED_PAD src0_sel:WORD_1 src1_sel:DWORD
	v_fma_f16 v108, v42, s24, v107
	v_fma_f16 v107, v104, s14, v106
	v_add_f16_e32 v91, v107, v91
	v_mul_f16_sdwa v107, v104, s14 dst_sel:DWORD dst_unused:UNUSED_PAD src0_sel:WORD_1 src1_sel:DWORD
	v_fma_f16 v106, v104, s14, -v106
	v_add_f16_e32 v90, v106, v90
	v_fma_f16 v106, v42, s23, v107
	s_movk_i32 s25, 0x3770
	v_add_f16_e32 v92, v106, v92
	v_mul_f16_sdwa v106, v42, s25 dst_sel:DWORD dst_unused:UNUSED_PAD src0_sel:WORD_1 src1_sel:DWORD
	v_add_f16_e32 v89, v108, v89
	v_fma_f16 v108, v42, s15, v107
	v_fma_f16 v107, v104, s2, v106
	v_add_f16_e32 v95, v107, v95
	v_mul_f16_sdwa v107, v104, s2 dst_sel:DWORD dst_unused:UNUSED_PAD src0_sel:WORD_1 src1_sel:DWORD
	v_fma_f16 v106, v104, s2, -v106
	v_add_f16_e32 v94, v106, v94
	v_fma_f16 v106, v42, s25, v107
	v_add_f16_e32 v96, v106, v96
	v_mul_f16_sdwa v106, v42, s5 dst_sel:DWORD dst_unused:UNUSED_PAD src0_sel:WORD_1 src1_sel:DWORD
	v_add_f16_e32 v93, v108, v93
	v_fma_f16 v108, v42, s4, v107
	v_fma_f16 v107, v104, s3, v106
	v_add_f16_e32 v99, v107, v99
	v_mul_f16_sdwa v107, v104, s3 dst_sel:DWORD dst_unused:UNUSED_PAD src0_sel:WORD_1 src1_sel:DWORD
	v_fma_f16 v106, v104, s3, -v106
	v_add_f16_e32 v98, v106, v98
	v_fma_f16 v106, v42, s5, v107
	v_add_f16_e32 v100, v106, v100
	v_pk_add_f16 v106, v40, v37
	v_pk_add_f16 v37, v37, v40 neg_lo:[0,1] neg_hi:[0,1]
	v_pk_mul_f16 v40, v37, s15 op_sel_hi:[1,0]
	v_add_f16_e32 v97, v108, v97
	v_fma_f16 v108, v42, s22, v107
	v_pk_fma_f16 v107, v106, s14, v40 op_sel:[0,0,1] op_sel_hi:[1,0,0]
	v_pk_fma_f16 v40, v106, s14, v40 op_sel:[0,0,1] op_sel_hi:[1,0,0] neg_lo:[0,0,1] neg_hi:[0,0,1]
	v_add_f16_e32 v101, v108, v101
	v_bfi_b32 v108, s0, v107, v40
	v_pk_add_f16 v85, v108, v85
	v_mul_f16_sdwa v108, v37, s21 dst_sel:DWORD dst_unused:UNUSED_PAD src0_sel:WORD_1 src1_sel:DWORD
	v_fma_f16 v109, v106, s16, v108
	v_add_f16_e32 v87, v109, v87
	v_mul_f16_sdwa v109, v106, s16 dst_sel:DWORD dst_unused:UNUSED_PAD src0_sel:WORD_1 src1_sel:DWORD
	v_fma_f16 v108, v106, s16, -v108
	v_add_f16_e32 v86, v108, v86
	v_fma_f16 v108, v37, s21, v109
	v_add_f16_e32 v88, v108, v88
	v_mul_f16_sdwa v108, v37, s25 dst_sel:DWORD dst_unused:UNUSED_PAD src0_sel:WORD_1 src1_sel:DWORD
	v_fma_f16 v110, v37, s17, v109
	v_fma_f16 v109, v106, s2, v108
	v_add_f16_e32 v91, v109, v91
	v_mul_f16_sdwa v109, v106, s2 dst_sel:DWORD dst_unused:UNUSED_PAD src0_sel:WORD_1 src1_sel:DWORD
	v_fma_f16 v108, v106, s2, -v108
	v_add_f16_e32 v90, v108, v90
	v_fma_f16 v108, v37, s25, v109
	v_add_f16_e32 v92, v108, v92
	v_mul_f16_sdwa v108, v37, s13 dst_sel:DWORD dst_unused:UNUSED_PAD src0_sel:WORD_1 src1_sel:DWORD
	v_add_f16_e32 v89, v110, v89
	v_fma_f16 v110, v37, s4, v109
	v_fma_f16 v109, v106, s12, v108
	v_add_f16_e32 v95, v109, v95
	v_mul_f16_sdwa v109, v106, s12 dst_sel:DWORD dst_unused:UNUSED_PAD src0_sel:WORD_1 src1_sel:DWORD
	v_fma_f16 v108, v106, s12, -v108
	v_add_f16_e32 v94, v108, v94
	v_fma_f16 v108, v37, s13, v109
	v_add_f16_e32 v96, v108, v96
	v_mul_f16_sdwa v108, v37, s24 dst_sel:DWORD dst_unused:UNUSED_PAD src0_sel:WORD_1 src1_sel:DWORD
	v_add_f16_e32 v93, v110, v93
	v_fma_f16 v110, v37, s18, v109
	v_fma_f16 v109, v106, s19, v108
	v_add_f16_e32 v99, v109, v99
	v_mul_f16_sdwa v109, v106, s19 dst_sel:DWORD dst_unused:UNUSED_PAD src0_sel:WORD_1 src1_sel:DWORD
	v_fma_f16 v108, v106, s19, -v108
	v_add_f16_e32 v98, v108, v98
	v_fma_f16 v108, v37, s24, v109
	v_add_f16_e32 v100, v108, v100
	v_pk_add_f16 v108, v39, v38
	v_pk_add_f16 v38, v38, v39 neg_lo:[0,1] neg_hi:[0,1]
	v_pk_mul_f16 v39, v38, s17 op_sel_hi:[1,0]
	v_add_f16_e32 v97, v110, v97
	v_fma_f16 v110, v37, s20, v109
	v_pk_fma_f16 v109, v108, s16, v39 op_sel:[0,0,1] op_sel_hi:[1,0,0]
	v_pk_fma_f16 v39, v108, s16, v39 op_sel:[0,0,1] op_sel_hi:[1,0,0] neg_lo:[0,0,1] neg_hi:[0,0,1]
	v_add_f16_e32 v101, v110, v101
	v_bfi_b32 v110, s0, v109, v39
	v_pk_add_f16 v85, v110, v85
	v_mul_f16_sdwa v110, v38, s18 dst_sel:DWORD dst_unused:UNUSED_PAD src0_sel:WORD_1 src1_sel:DWORD
	v_fma_f16 v111, v108, s12, v110
	v_add_f16_e32 v87, v111, v87
	v_mul_f16_sdwa v111, v108, s12 dst_sel:DWORD dst_unused:UNUSED_PAD src0_sel:WORD_1 src1_sel:DWORD
	v_fma_f16 v110, v108, s12, -v110
	v_add_f16_e32 v86, v110, v86
	v_fma_f16 v110, v38, s18, v111
	v_add_f16_e32 v88, v110, v88
	v_mul_f16_sdwa v110, v38, s5 dst_sel:DWORD dst_unused:UNUSED_PAD src0_sel:WORD_1 src1_sel:DWORD
	v_fma_f16 v112, v38, s13, v111
	v_fma_f16 v111, v108, s3, v110
	v_add_f16_e32 v91, v111, v91
	v_mul_f16_sdwa v111, v108, s3 dst_sel:DWORD dst_unused:UNUSED_PAD src0_sel:WORD_1 src1_sel:DWORD
	v_fma_f16 v110, v108, s3, -v110
	v_add_f16_e32 v90, v110, v90
	v_fma_f16 v110, v38, s5, v111
	;; [unrolled: 47-line block ×3, first 2 shown]
	v_add_f16_e32 v92, v112, v92
	v_mul_f16_sdwa v112, v35, s22 dst_sel:DWORD dst_unused:UNUSED_PAD src0_sel:WORD_1 src1_sel:DWORD
	v_add_f16_e32 v89, v114, v89
	v_fma_f16 v114, v35, s21, v113
	v_fma_f16 v113, v110, s3, v112
	v_add_f16_e32 v95, v113, v95
	v_mul_f16_sdwa v113, v110, s3 dst_sel:DWORD dst_unused:UNUSED_PAD src0_sel:WORD_1 src1_sel:DWORD
	v_fma_f16 v112, v110, s3, -v112
	v_add_f16_e32 v94, v112, v94
	v_fma_f16 v112, v35, s22, v113
	v_add_f16_e32 v96, v112, v96
	v_mul_f16_sdwa v112, v35, s15 dst_sel:DWORD dst_unused:UNUSED_PAD src0_sel:WORD_1 src1_sel:DWORD
	v_add_f16_e32 v93, v114, v93
	v_fma_f16 v114, v35, s5, v113
	v_fma_f16 v113, v110, s14, v112
	v_add_f16_e32 v99, v113, v99
	v_mul_f16_sdwa v113, v110, s14 dst_sel:DWORD dst_unused:UNUSED_PAD src0_sel:WORD_1 src1_sel:DWORD
	v_add_f16_e32 v97, v114, v97
	v_fma_f16 v114, v35, s23, v113
	s_waitcnt lgkmcnt(0)
	; wave barrier
	v_add_f16_e32 v101, v114, v101
	ds_write2_b32 v64, v82, v85 offset1:1
	v_pack_b32_f16 v82, v91, v93
	v_pack_b32_f16 v85, v87, v89
	ds_write2_b32 v64, v85, v82 offset0:2 offset1:3
	v_pack_b32_f16 v82, v99, v101
	v_pack_b32_f16 v85, v95, v97
	ds_write2_b32 v64, v85, v82 offset0:4 offset1:5
	v_pk_mul_f16 v82, v83, s19 op_sel_hi:[1,0]
	v_pk_fma_f16 v83, v34, s20, v82 op_sel:[0,0,1] op_sel_hi:[1,0,0]
	v_pk_fma_f16 v34, v34, s20, v82 op_sel:[0,0,1] op_sel_hi:[1,0,0] neg_lo:[1,0,0] neg_hi:[1,0,0]
	v_alignbit_b32 v82, s0, v33, 16
	v_alignbit_b32 v85, s0, v83, 16
	v_pk_add_f16 v82, v82, v83
	v_pk_mul_f16 v83, v102, s2 op_sel_hi:[1,0]
	v_pk_add_f16 v34, v33, v34 op_sel:[1,0] op_sel_hi:[0,1]
	v_pk_fma_f16 v87, v41, s25, v83 op_sel:[0,0,1] op_sel_hi:[1,0,0]
	v_pk_fma_f16 v41, v41, s25, v83 op_sel:[0,0,1] op_sel_hi:[1,0,0] neg_lo:[1,0,0] neg_hi:[1,0,0]
	v_pk_add_f16 v34, v41, v34
	v_pk_add_f16 v41, v87, v82
	v_pk_mul_f16 v82, v104, s16 op_sel_hi:[1,0]
	v_pk_fma_f16 v83, v42, s17, v82 op_sel:[0,0,1] op_sel_hi:[1,0,0]
	v_pk_fma_f16 v42, v42, s17, v82 op_sel:[0,0,1] op_sel_hi:[1,0,0] neg_lo:[1,0,0] neg_hi:[1,0,0]
	v_pk_add_f16 v34, v42, v34
	v_pk_mul_f16 v42, v106, s3 op_sel_hi:[1,0]
	v_pk_add_f16 v41, v83, v41
	v_pk_fma_f16 v82, v37, s22, v42 op_sel:[0,0,1] op_sel_hi:[1,0,0]
	v_pk_fma_f16 v37, v37, s22, v42 op_sel:[0,0,1] op_sel_hi:[1,0,0] neg_lo:[1,0,0] neg_hi:[1,0,0]
	v_pk_add_f16 v85, v33, v85
	v_alignbit_b32 v89, s0, v87, 16
	v_pk_add_f16 v34, v37, v34
	v_pk_add_f16 v37, v82, v41
	v_pk_mul_f16 v41, v108, s14 op_sel_hi:[1,0]
	v_pk_add_f16 v85, v89, v85
	v_alignbit_b32 v87, s0, v83, 16
	v_pk_fma_f16 v42, v38, s15, v41 op_sel:[0,0,1] op_sel_hi:[1,0,0]
	v_pk_fma_f16 v38, v38, s15, v41 op_sel:[0,0,1] op_sel_hi:[1,0,0] neg_lo:[1,0,0] neg_hi:[1,0,0]
	v_pk_add_f16 v85, v87, v85
	v_alignbit_b32 v83, s0, v82, 16
	v_pk_add_f16 v34, v38, v34
	v_pk_mul_f16 v38, v110, s12 op_sel_hi:[1,0]
	v_fma_f16 v112, v110, s14, -v112
	v_pk_add_f16 v83, v83, v85
	v_alignbit_b32 v82, s0, v42, 16
	v_pk_fma_f16 v41, v35, s18, v38 op_sel:[0,0,1] op_sel_hi:[1,0,0]
	v_add_f16_e32 v98, v112, v98
	v_fma_f16 v112, v35, s15, v113
	v_pk_add_f16 v82, v82, v83
	v_pk_add_f16 v37, v42, v37
	v_alignbit_b32 v42, s0, v41, 16
	v_pk_fma_f16 v35, v35, s18, v38 op_sel:[0,0,1] op_sel_hi:[1,0,0] neg_lo:[1,0,0] neg_hi:[1,0,0]
	v_pk_add_f16 v42, v42, v82
	v_pk_add_f16 v34, v35, v34
	v_pk_add_f16 v35, v41, v37
	v_add_f16_e32 v100, v112, v100
	v_alignbit_b32 v35, v35, v34, 16
	v_pack_b32_f16 v34, v42, v34
	ds_write2_b32 v64, v34, v35 offset0:6 offset1:7
	v_pack_b32_f16 v34, v94, v96
	v_pack_b32_f16 v35, v98, v100
	ds_write2_b32 v64, v35, v34 offset0:8 offset1:9
	v_pack_b32_f16 v34, v86, v88
	v_pack_b32_f16 v35, v90, v92
	ds_write2_b32 v64, v35, v34 offset0:10 offset1:11
	v_bfi_b32 v34, s0, v81, v84
	v_pk_add_f16 v33, v33, v34
	v_bfi_b32 v34, s0, v44, v103
	v_pk_add_f16 v33, v34, v33
	;; [unrolled: 2-line block ×5, first 2 shown]
	v_bfi_b32 v34, s0, v36, v111
	v_add_u32_e32 v79, 0xd0, v46
	v_pk_add_f16 v33, v34, v33
	ds_write_b32 v64, v33 offset:48
	s_and_saveexec_b64 s[0:1], vcc
	s_cbranch_execz .LBB0_13
; %bb.12:
	v_add_f16_sdwa v33, v31, v80 dst_sel:DWORD dst_unused:UNUSED_PAD src0_sel:WORD_1 src1_sel:DWORD
	v_mul_f16_e32 v34, 0xbbc4, v33
	v_sub_f16_e32 v35, v30, v72
	v_add_f16_e32 v37, v71, v66
	v_fma_f16 v36, v35, s24, v34
	v_mul_f16_e32 v38, 0x3b15, v37
	v_sub_f16_e32 v39, v11, v16
	v_add_f16_e32 v36, v78, v36
	v_fma_f16 v40, v39, s4, v38
	v_add_f16_e32 v36, v40, v36
	v_add_f16_e32 v40, v73, v67
	v_mul_f16_e32 v41, 0xb9fd, v40
	v_sub_f16_e32 v42, v12, v15
	v_fma_f16 v43, v42, s21, v41
	v_add_f16_e32 v36, v43, v36
	v_add_f16_e32 v43, v75, v68
	v_mul_f16_e32 v44, 0x388b, v43
	v_sub_f16_e32 v64, v13, v18
	v_fma_f16 v81, v64, s5, v44
	v_add_f16_e32 v36, v81, v36
	v_add_f16_e32 v81, v74, v70
	v_mul_f16_e32 v82, 0xb5ac, v81
	v_sub_f16_e32 v83, v14, v17
	v_fma_f16 v84, v83, s23, v82
	v_add_f16_e32 v36, v84, v36
	v_add_f16_e32 v84, v77, v76
	v_mul_f16_e32 v85, 0x2fb7, v84
	v_sub_f16_e32 v86, v31, v32
	v_fma_f16 v87, v86, s13, v85
	v_sub_f16_sdwa v88, v80, v31 dst_sel:DWORD dst_unused:UNUSED_PAD src0_sel:DWORD src1_sel:WORD_1
	v_add_f16_e32 v36, v87, v36
	v_add_f16_e32 v87, v72, v30
	v_mul_f16_e32 v89, 0xb3a8, v88
	v_sub_f16_e32 v92, v66, v71
	v_fma_f16 v90, v87, s19, v89
	v_add_f16_e32 v91, v16, v11
	v_mul_f16_e32 v93, 0x3770, v92
	v_add_f16_e32 v90, v29, v90
	v_fma_f16 v94, v91, s2, v93
	v_sub_f16_e32 v95, v67, v73
	v_add_f16_e32 v90, v94, v90
	v_add_f16_e32 v94, v15, v12
	v_mul_f16_e32 v96, 0xb94e, v95
	v_fma_f16 v97, v94, s16, v96
	v_sub_f16_e32 v98, v68, v75
	v_add_f16_e32 v90, v97, v90
	v_add_f16_e32 v97, v18, v13
	v_mul_f16_e32 v99, 0x3a95, v98
	;; [unrolled: 5-line block ×4, first 2 shown]
	v_fma_f16 v106, v103, s12, v105
	v_add_f16_e32 v90, v106, v90
	v_mul_f16_e32 v106, 0xb9fd, v33
	v_fma_f16 v107, v35, s21, v106
	v_mul_f16_e32 v108, 0x2fb7, v37
	v_add_f16_e32 v107, v78, v107
	v_fma_f16 v109, v39, s13, v108
	v_add_f16_e32 v107, v109, v107
	v_mul_f16_e32 v109, 0x388b, v40
	v_fma_f16 v110, v42, s22, v109
	v_add_f16_e32 v107, v110, v107
	v_mul_f16_e32 v110, 0xbbc4, v43
	v_fma_f16 v111, v64, s20, v110
	v_add_f16_e32 v107, v111, v107
	v_mul_f16_e32 v111, 0x3b15, v81
	v_fma_f16 v112, v83, s4, v111
	v_add_f16_e32 v107, v112, v107
	v_mul_f16_e32 v112, 0xb5ac, v84
	v_fma_f16 v113, v86, s23, v112
	v_add_f16_e32 v107, v113, v107
	v_mul_f16_e32 v113, 0xb94e, v88
	v_fma_f16 v114, v87, s16, v113
	v_mul_f16_e32 v115, 0x3bf1, v92
	v_add_f16_e32 v114, v29, v114
	v_fma_f16 v116, v91, s12, v115
	v_add_f16_e32 v114, v116, v114
	v_mul_f16_e32 v116, 0xba95, v95
	v_fma_f16 v117, v94, s3, v116
	v_add_f16_e32 v114, v117, v114
	v_mul_f16_e32 v117, 0x33a8, v98
	v_fma_f16 v118, v97, s19, v117
	v_add_f16_e32 v114, v118, v114
	v_mul_f16_e32 v118, 0x3770, v101
	v_fma_f16 v119, v100, s2, v118
	v_add_f16_e32 v114, v119, v114
	v_mul_f16_e32 v119, 0xbb7b, v104
	;; [unrolled: 18-line block ×3, first 2 shown]
	v_fma_f16 v127, v86, s5, v126
	v_add_f16_e32 v121, v127, v121
	v_mul_f16_e32 v127, 0xbb7b, v88
	v_fma_f16 v128, v87, s14, v127
	v_mul_f16_e32 v129, 0x394e, v92
	v_add_f16_e32 v128, v29, v128
	v_fma_f16 v130, v91, s16, v129
	v_add_f16_e32 v128, v130, v128
	v_mul_f16_e32 v130, 0x3770, v95
	v_fma_f16 v131, v94, s2, v130
	v_add_f16_e32 v128, v131, v128
	v_mul_f16_e32 v131, 0xbbf1, v98
	v_add_f16_e32 v30, v30, v29
	v_fma_f16 v132, v97, s12, v131
	v_add_f16_e32 v11, v11, v30
	v_add_f16_e32 v128, v132, v128
	v_mul_f16_e32 v132, 0x33a8, v101
	v_add_f16_e32 v11, v12, v11
	v_fma_f16 v133, v100, s19, v132
	v_add_f16_e32 v11, v13, v11
	v_fma_f16 v13, v35, s20, v34
	v_add_f16_e32 v128, v133, v128
	v_mul_f16_e32 v133, 0x3a95, v104
	v_add_f16_e32 v11, v14, v11
	v_add_f16_e32 v13, v78, v13
	v_fma_f16 v14, v39, s25, v38
	v_fma_f16 v134, v103, s3, v133
	v_add_f16_e32 v13, v14, v13
	v_fma_f16 v14, v42, s17, v41
	v_add_f16_e32 v128, v134, v128
	v_mul_f16_e32 v134, 0x2fb7, v33
	v_add_f16_e32 v11, v31, v11
	v_add_f16_e32 v13, v14, v13
	v_fma_f16 v14, v64, s22, v44
	v_fma_f16 v135, v35, s18, v134
	v_mul_f16_e32 v136, 0xbbc4, v37
	v_add_f16_e32 v11, v32, v11
	v_add_f16_e32 v13, v14, v13
	v_fma_f16 v14, v83, s15, v82
	v_add_f16_e32 v135, v78, v135
	v_fma_f16 v137, v39, s24, v136
	v_add_f16_e32 v11, v17, v11
	v_add_f16_e32 v13, v14, v13
	v_fma_f16 v14, v86, s18, v85
	v_add_f16_e32 v135, v137, v135
	v_mul_f16_e32 v137, 0xb5ac, v40
	v_add_f16_e32 v11, v18, v11
	v_add_f16_e32 v13, v14, v13
	v_fma_f16 v14, v87, s19, -v89
	v_fma_f16 v138, v42, s15, v137
	v_add_f16_e32 v11, v15, v11
	v_add_f16_e32 v14, v29, v14
	v_fma_f16 v15, v91, s2, -v93
	v_add_f16_e32 v135, v138, v135
	v_mul_f16_e32 v138, 0x3b15, v43
	v_add_f16_e32 v14, v15, v14
	v_fma_f16 v15, v94, s16, -v96
	v_fma_f16 v139, v64, s4, v138
	v_add_f16_e32 v14, v15, v14
	v_fma_f16 v15, v97, s3, -v99
	v_add_f16_e32 v135, v139, v135
	v_mul_f16_e32 v139, 0x388b, v81
	v_add_f16_e32 v14, v15, v14
	v_fma_f16 v15, v100, s14, -v102
	v_fma_f16 v140, v83, s22, v139
	v_add_f16_e32 v14, v15, v14
	v_fma_f16 v15, v103, s12, -v105
	v_add_f16_e32 v135, v140, v135
	v_mul_f16_e32 v140, 0xb9fd, v84
	v_add_f16_e32 v14, v15, v14
	v_fma_f16 v15, v35, s17, v106
	v_fma_f16 v141, v86, s21, v140
	v_add_f16_e32 v11, v16, v11
	v_add_f16_e32 v15, v78, v15
	v_fma_f16 v16, v39, s18, v108
	v_add_f16_e32 v135, v141, v135
	v_mul_f16_e32 v141, 0xbbf1, v88
	v_add_f16_e32 v15, v16, v15
	v_fma_f16 v16, v42, s5, v109
	v_fma_f16 v142, v87, s12, v141
	v_mul_f16_e32 v143, 0xb3a8, v92
	v_add_f16_e32 v15, v16, v15
	v_fma_f16 v16, v64, s24, v110
	v_add_f16_e32 v142, v29, v142
	v_fma_f16 v144, v91, s19, v143
	;; [unrolled: 2-line block ×3, first 2 shown]
	v_add_f16_e32 v142, v144, v142
	v_mul_f16_e32 v144, 0x3b7b, v95
	v_add_f16_e32 v15, v16, v15
	v_fma_f16 v16, v86, s15, v112
	v_fma_f16 v145, v94, s14, v144
	v_add_f16_e32 v15, v16, v15
	v_fma_f16 v16, v87, s16, -v113
	v_add_f16_e32 v142, v145, v142
	v_mul_f16_e32 v145, 0x3770, v98
	v_add_f16_e32 v16, v29, v16
	v_fma_f16 v17, v91, s12, -v115
	v_fma_f16 v146, v97, s2, v145
	v_add_f16_e32 v16, v17, v16
	v_fma_f16 v17, v94, s3, -v116
	v_add_f16_e32 v142, v146, v142
	v_mul_f16_e32 v146, 0xba95, v101
	v_add_f16_e32 v16, v17, v16
	v_fma_f16 v17, v97, s19, -v117
	;; [unrolled: 7-line block ×3, first 2 shown]
	v_fma_f16 v148, v103, s16, v147
	v_add_f16_e32 v16, v17, v16
	v_fma_f16 v17, v35, s15, v120
	v_add_f16_e32 v142, v148, v142
	v_mul_f16_e32 v148, 0x388b, v33
	v_add_f16_e32 v17, v78, v17
	v_fma_f16 v18, v39, s21, v122
	v_fma_f16 v149, v35, s22, v148
	v_mul_f16_e32 v150, 0xb5ac, v37
	v_add_f16_e32 v12, v80, v78
	v_add_f16_e32 v17, v18, v17
	v_fma_f16 v18, v42, s25, v123
	v_add_f16_e32 v149, v78, v149
	v_fma_f16 v151, v39, s23, v150
	v_add_f16_e32 v12, v66, v12
	v_add_f16_e32 v17, v18, v17
	v_fma_f16 v18, v64, s13, v124
	v_add_f16_e32 v149, v151, v149
	v_mul_f16_e32 v151, 0xbbc4, v40
	v_add_f16_e32 v12, v67, v12
	v_add_f16_e32 v17, v18, v17
	v_fma_f16 v18, v83, s24, v125
	v_fma_f16 v152, v42, s24, v151
	v_add_f16_e32 v12, v68, v12
	v_add_f16_e32 v17, v18, v17
	v_fma_f16 v18, v86, s22, v126
	v_add_f16_e32 v149, v152, v149
	v_mul_f16_e32 v152, 0xb9fd, v43
	v_add_f16_e32 v12, v70, v12
	v_add_f16_e32 v17, v18, v17
	v_fma_f16 v18, v87, s14, -v127
	v_fma_f16 v153, v64, s17, v152
	v_add_f16_e32 v12, v76, v12
	v_add_f16_e32 v18, v29, v18
	v_fma_f16 v30, v91, s16, -v129
	v_add_f16_e32 v149, v153, v149
	v_mul_f16_e32 v153, 0x2fb7, v81
	v_add_f16_e32 v12, v77, v12
	v_add_f16_e32 v18, v30, v18
	v_fma_f16 v30, v94, s2, -v130
	v_fma_f16 v154, v83, s13, v153
	v_add_f16_e32 v12, v74, v12
	v_add_f16_e32 v18, v30, v18
	v_fma_f16 v30, v97, s12, -v131
	;; [unrolled: 9-line block ×3, first 2 shown]
	v_add_f16_e32 v149, v155, v149
	v_mul_f16_e32 v155, 0xba95, v88
	v_add_f16_e32 v12, v71, v12
	v_add_f16_e32 v18, v30, v18
	v_fma_f16 v30, v35, s13, v134
	v_fma_f16 v156, v87, s3, v155
	v_mul_f16_e32 v157, 0xbb7b, v92
	v_add_f16_sdwa v12, v31, v12 dst_sel:DWORD dst_unused:UNUSED_PAD src0_sel:WORD_1 src1_sel:DWORD
	v_add_f16_e32 v30, v78, v30
	v_fma_f16 v31, v39, s20, v136
	v_add_f16_e32 v156, v29, v156
	v_fma_f16 v158, v91, s14, v157
	;; [unrolled: 2-line block ×3, first 2 shown]
	v_add_f16_e32 v156, v158, v156
	v_mul_f16_e32 v158, 0xb3a8, v95
	v_add_f16_e32 v30, v31, v30
	v_fma_f16 v31, v64, s25, v138
	v_fma_f16 v159, v94, s19, v158
	v_add_f16_e32 v30, v31, v30
	v_fma_f16 v31, v83, s5, v139
	v_add_f16_e32 v156, v159, v156
	v_mul_f16_e32 v159, 0x394e, v98
	v_add_f16_e32 v30, v31, v30
	v_fma_f16 v31, v86, s17, v140
	v_fma_f16 v160, v97, s16, v159
	v_add_f16_e32 v30, v31, v30
	v_fma_f16 v31, v87, s12, -v141
	v_add_f16_e32 v156, v160, v156
	v_mul_f16_e32 v160, 0x3bf1, v101
	v_add_f16_e32 v31, v29, v31
	v_fma_f16 v32, v91, s19, -v143
	v_fma_f16 v161, v100, s12, v160
	v_add_f16_e32 v31, v32, v31
	v_fma_f16 v32, v94, s14, -v144
	v_add_f16_e32 v156, v161, v156
	v_mul_f16_e32 v161, 0x3770, v104
	v_add_f16_e32 v31, v32, v31
	v_fma_f16 v32, v97, s2, -v145
	v_fma_f16 v162, v103, s2, v161
	v_mul_f16_e32 v33, 0x3b15, v33
	v_add_f16_e32 v31, v32, v31
	v_fma_f16 v32, v100, s3, -v146
	v_add_f16_e32 v156, v162, v156
	v_fma_f16 v162, v35, s25, v33
	v_mul_f16_e32 v37, 0x388b, v37
	v_add_f16_e32 v31, v32, v31
	v_fma_f16 v32, v103, s16, -v147
	v_add_f16_e32 v162, v78, v162
	v_fma_f16 v163, v39, s22, v37
	v_mul_f16_e32 v40, 0x2fb7, v40
	v_add_f16_e32 v31, v32, v31
	v_fma_f16 v32, v35, s5, v148
	v_fma_f16 v33, v35, s4, v33
	v_add_f16_e32 v162, v163, v162
	v_fma_f16 v163, v42, s18, v40
	v_mul_f16_e32 v43, 0xb5ac, v43
	v_add_f16_e32 v32, v78, v32
	v_fma_f16 v34, v39, s15, v150
	v_add_f16_e32 v33, v78, v33
	v_fma_f16 v35, v39, s5, v37
	v_add_f16_e32 v162, v163, v162
	v_fma_f16 v163, v64, s23, v43
	v_mul_f16_e32 v81, 0xb9fd, v81
	v_add_f16_e32 v32, v34, v32
	v_fma_f16 v34, v42, s20, v151
	v_add_f16_e32 v33, v35, v33
	;; [unrolled: 7-line block ×5, first 2 shown]
	v_fma_f16 v35, v86, s20, v84
	v_add_f16_e32 v163, v29, v163
	v_fma_f16 v164, v91, s3, v92
	v_mul_f16_e32 v95, 0xbbf1, v95
	v_add_f16_e32 v32, v34, v32
	v_fma_f16 v34, v87, s3, -v155
	v_add_f16_e32 v33, v35, v33
	v_fma_f16 v35, v87, s2, -v88
	v_add_f16_e32 v163, v164, v163
	v_fma_f16 v164, v94, s12, v95
	v_mul_f16_e32 v98, 0xbb7b, v98
	v_add_f16_e32 v34, v29, v34
	v_add_f16_e32 v29, v29, v35
	v_fma_f16 v35, v91, s3, -v92
	v_add_f16_e32 v163, v164, v163
	v_fma_f16 v164, v97, s14, v98
	v_mul_f16_e32 v101, 0xb94e, v101
	v_add_f16_e32 v29, v35, v29
	v_fma_f16 v35, v94, s12, -v95
	v_add_f16_e32 v163, v164, v163
	v_fma_f16 v164, v100, s16, v101
	v_mul_f16_e32 v104, 0xb3a8, v104
	v_add_f16_e32 v29, v35, v29
	v_fma_f16 v35, v97, s14, -v98
	v_add_f16_e32 v163, v164, v163
	v_fma_f16 v164, v103, s19, v104
	v_add_f16_e32 v29, v35, v29
	v_fma_f16 v35, v100, s16, -v101
	v_add_f16_e32 v163, v164, v163
	v_add_f16_e32 v11, v72, v11
	v_fma_f16 v38, v91, s14, -v157
	v_add_f16_e32 v29, v35, v29
	v_fma_f16 v35, v103, s19, -v104
	;; [unrolled: 2-line block ×3, first 2 shown]
	v_add_f16_e32 v29, v35, v29
	v_lshl_add_u32 v35, v65, 2, v62
	v_pack_b32_f16 v37, v163, v162
	v_pack_b32_f16 v11, v11, v12
	v_add_f16_e32 v34, v38, v34
	v_fma_f16 v38, v97, s16, -v159
	ds_write2_b32 v35, v11, v37 offset1:1
	v_pack_b32_f16 v11, v142, v135
	v_pack_b32_f16 v12, v156, v149
	v_add_f16_e32 v34, v38, v34
	v_fma_f16 v38, v100, s12, -v160
	ds_write2_b32 v35, v12, v11 offset0:2 offset1:3
	v_pack_b32_f16 v11, v114, v107
	v_pack_b32_f16 v12, v128, v121
	v_add_f16_e32 v34, v38, v34
	v_fma_f16 v38, v103, s2, -v161
	ds_write2_b32 v35, v12, v11 offset0:4 offset1:5
	v_pack_b32_f16 v11, v14, v13
	v_pack_b32_f16 v12, v90, v36
	v_add_f16_e32 v34, v38, v34
	ds_write2_b32 v35, v12, v11 offset0:6 offset1:7
	v_pack_b32_f16 v11, v18, v17
	v_pack_b32_f16 v12, v16, v15
	ds_write2_b32 v35, v12, v11 offset0:8 offset1:9
	v_pack_b32_f16 v11, v34, v32
	v_pack_b32_f16 v12, v31, v30
	ds_write2_b32 v35, v12, v11 offset0:10 offset1:11
	v_pack_b32_f16 v11, v29, v33
	ds_write_b32 v35, v11 offset:48
.LBB0_13:
	s_or_b64 exec, exec, s[0:1]
	s_waitcnt lgkmcnt(0)
	; wave barrier
	s_waitcnt lgkmcnt(0)
	ds_read2_b32 v[11:12], v46 offset1:13
	ds_read2_b32 v[13:14], v46 offset0:26 offset1:39
	ds_read2_b32 v[15:16], v46 offset0:78 offset1:91
	;; [unrolled: 1-line block ×5, first 2 shown]
	s_waitcnt lgkmcnt(4)
	v_lshrrev_b32_e32 v36, 16, v14
	v_mul_f16_sdwa v70, v0, v36 dst_sel:DWORD dst_unused:UNUSED_PAD src0_sel:WORD_1 src1_sel:DWORD
	s_waitcnt lgkmcnt(3)
	v_lshrrev_b32_e32 v37, 16, v15
	v_fma_f16 v70, v0, v14, v70
	v_mul_f16_sdwa v14, v0, v14 dst_sel:DWORD dst_unused:UNUSED_PAD src0_sel:WORD_1 src1_sel:DWORD
	v_fma_f16 v14, v0, v36, -v14
	v_mul_f16_sdwa v36, v1, v37 dst_sel:DWORD dst_unused:UNUSED_PAD src0_sel:WORD_1 src1_sel:DWORD
	s_waitcnt lgkmcnt(2)
	v_lshrrev_b32_e32 v38, 16, v18
	v_fma_f16 v36, v1, v15, v36
	v_mul_f16_sdwa v15, v1, v15 dst_sel:DWORD dst_unused:UNUSED_PAD src0_sel:WORD_1 src1_sel:DWORD
	v_fma_f16 v15, v1, v37, -v15
	v_mul_f16_sdwa v37, v2, v38 dst_sel:DWORD dst_unused:UNUSED_PAD src0_sel:WORD_1 src1_sel:DWORD
	s_waitcnt lgkmcnt(1)
	v_lshrrev_b32_e32 v39, 16, v29
	v_fma_f16 v37, v2, v18, v37
	v_mul_f16_sdwa v18, v2, v18 dst_sel:DWORD dst_unused:UNUSED_PAD src0_sel:WORD_1 src1_sel:DWORD
	ds_read2_b32 v[33:34], v46 offset0:130 offset1:143
	v_fma_f16 v18, v2, v38, -v18
	v_mul_f16_sdwa v38, v3, v39 dst_sel:DWORD dst_unused:UNUSED_PAD src0_sel:WORD_1 src1_sel:DWORD
	s_waitcnt lgkmcnt(1)
	v_lshrrev_b32_e32 v41, 16, v31
	v_fma_f16 v38, v3, v29, v38
	v_mul_f16_sdwa v29, v3, v29 dst_sel:DWORD dst_unused:UNUSED_PAD src0_sel:WORD_1 src1_sel:DWORD
	v_fma_f16 v29, v3, v39, -v29
	v_mul_f16_sdwa v39, v0, v41 dst_sel:DWORD dst_unused:UNUSED_PAD src0_sel:WORD_1 src1_sel:DWORD
	v_lshrrev_b32_e32 v42, 16, v16
	v_fma_f16 v39, v0, v31, v39
	v_mul_f16_sdwa v31, v0, v31 dst_sel:DWORD dst_unused:UNUSED_PAD src0_sel:WORD_1 src1_sel:DWORD
	v_fma_f16 v0, v0, v41, -v31
	v_mul_f16_sdwa v31, v1, v42 dst_sel:DWORD dst_unused:UNUSED_PAD src0_sel:WORD_1 src1_sel:DWORD
	s_waitcnt lgkmcnt(0)
	v_lshrrev_b32_e32 v43, 16, v33
	v_fma_f16 v31, v1, v16, v31
	v_mul_f16_sdwa v16, v1, v16 dst_sel:DWORD dst_unused:UNUSED_PAD src0_sel:WORD_1 src1_sel:DWORD
	v_fma_f16 v1, v1, v42, -v16
	v_mul_f16_sdwa v16, v2, v43 dst_sel:DWORD dst_unused:UNUSED_PAD src0_sel:WORD_1 src1_sel:DWORD
	v_lshrrev_b32_e32 v44, 16, v30
	v_fma_f16 v16, v2, v33, v16
	v_mul_f16_sdwa v33, v2, v33 dst_sel:DWORD dst_unused:UNUSED_PAD src0_sel:WORD_1 src1_sel:DWORD
	v_fma_f16 v2, v2, v43, -v33
	v_mul_f16_sdwa v33, v3, v44 dst_sel:DWORD dst_unused:UNUSED_PAD src0_sel:WORD_1 src1_sel:DWORD
	v_lshrrev_b32_e32 v65, 16, v32
	v_fma_f16 v33, v3, v30, v33
	v_mul_f16_sdwa v30, v3, v30 dst_sel:DWORD dst_unused:UNUSED_PAD src0_sel:WORD_1 src1_sel:DWORD
	ds_read_b32 v62, v46 offset:728
	v_fma_f16 v3, v3, v44, -v30
	v_mul_f16_sdwa v30, v4, v65 dst_sel:DWORD dst_unused:UNUSED_PAD src0_sel:WORD_1 src1_sel:DWORD
	v_lshrrev_b32_e32 v66, 16, v17
	v_fma_f16 v30, v4, v32, v30
	v_mul_f16_sdwa v32, v4, v32 dst_sel:DWORD dst_unused:UNUSED_PAD src0_sel:WORD_1 src1_sel:DWORD
	v_fma_f16 v4, v4, v65, -v32
	v_mul_f16_sdwa v32, v5, v66 dst_sel:DWORD dst_unused:UNUSED_PAD src0_sel:WORD_1 src1_sel:DWORD
	v_lshrrev_b32_e32 v67, 16, v34
	v_fma_f16 v32, v5, v17, v32
	v_mul_f16_sdwa v17, v5, v17 dst_sel:DWORD dst_unused:UNUSED_PAD src0_sel:WORD_1 src1_sel:DWORD
	v_fma_f16 v5, v5, v66, -v17
	v_mul_f16_sdwa v17, v6, v67 dst_sel:DWORD dst_unused:UNUSED_PAD src0_sel:WORD_1 src1_sel:DWORD
	s_waitcnt lgkmcnt(0)
	v_lshrrev_b32_e32 v68, 16, v62
	v_fma_f16 v17, v6, v34, v17
	v_mul_f16_sdwa v34, v6, v34 dst_sel:DWORD dst_unused:UNUSED_PAD src0_sel:WORD_1 src1_sel:DWORD
	v_add_f16_e32 v42, v36, v37
	v_fma_f16 v6, v6, v67, -v34
	v_mul_f16_sdwa v34, v7, v68 dst_sel:DWORD dst_unused:UNUSED_PAD src0_sel:WORD_1 src1_sel:DWORD
	v_fma_f16 v42, v42, -0.5, v11
	v_sub_f16_e32 v43, v14, v29
	s_mov_b32 s0, 0xbb9c
	s_movk_i32 s3, 0x3b9c
	v_fma_f16 v34, v7, v62, v34
	v_mul_f16_sdwa v41, v7, v62 dst_sel:DWORD dst_unused:UNUSED_PAD src0_sel:WORD_1 src1_sel:DWORD
	v_fma_f16 v44, v43, s0, v42
	v_sub_f16_e32 v62, v15, v18
	s_mov_b32 s1, 0xb8b4
	v_sub_f16_e32 v65, v70, v36
	v_sub_f16_e32 v66, v38, v37
	v_fma_f16 v42, v43, s3, v42
	s_movk_i32 s4, 0x38b4
	v_fma_f16 v44, v62, s1, v44
	v_add_f16_e32 v65, v65, v66
	s_movk_i32 s2, 0x34f2
	v_fma_f16 v42, v62, s4, v42
	v_fma_f16 v7, v7, v68, -v41
	v_add_f16_e32 v41, v11, v70
	v_fma_f16 v44, v65, s2, v44
	v_fma_f16 v42, v65, s2, v42
	v_add_f16_e32 v65, v70, v38
	v_lshrrev_b32_e32 v35, 16, v11
	v_add_f16_e32 v41, v41, v36
	v_fma_f16 v11, v65, -0.5, v11
	v_add_f16_e32 v41, v41, v37
	v_fma_f16 v65, v62, s3, v11
	v_sub_f16_e32 v66, v36, v70
	v_sub_f16_e32 v67, v37, v38
	v_fma_f16 v11, v62, s0, v11
	v_add_f16_e32 v62, v15, v18
	v_add_f16_e32 v41, v41, v38
	v_fma_f16 v65, v43, s1, v65
	v_add_f16_e32 v66, v66, v67
	v_fma_f16 v11, v43, s4, v11
	v_fma_f16 v62, v62, -0.5, v35
	v_sub_f16_e32 v38, v70, v38
	v_fma_f16 v65, v66, s2, v65
	v_fma_f16 v11, v66, s2, v11
	;; [unrolled: 1-line block ×3, first 2 shown]
	v_sub_f16_e32 v36, v36, v37
	v_fma_f16 v37, v36, s4, v66
	v_sub_f16_e32 v66, v14, v15
	v_sub_f16_e32 v67, v29, v18
	v_fma_f16 v62, v38, s0, v62
	v_add_f16_e32 v43, v35, v14
	v_add_f16_e32 v66, v66, v67
	v_fma_f16 v62, v36, s1, v62
	v_add_f16_e32 v43, v43, v15
	v_fma_f16 v37, v66, s2, v37
	v_fma_f16 v62, v66, s2, v62
	v_add_f16_e32 v66, v14, v29
	v_add_f16_e32 v43, v43, v18
	v_fma_f16 v35, v66, -0.5, v35
	v_add_f16_e32 v43, v43, v29
	v_fma_f16 v66, v36, s0, v35
	v_sub_f16_e32 v14, v15, v14
	v_sub_f16_e32 v15, v18, v29
	v_add_f16_e32 v29, v31, v16
	v_fma_f16 v66, v38, s4, v66
	v_add_f16_e32 v14, v14, v15
	v_fma_f16 v18, v36, s3, v35
	v_fma_f16 v29, v29, -0.5, v12
	v_sub_f16_e32 v35, v0, v3
	v_fma_f16 v15, v14, s2, v66
	v_fma_f16 v18, v38, s1, v18
	;; [unrolled: 1-line block ×3, first 2 shown]
	v_sub_f16_e32 v38, v1, v2
	v_sub_f16_e32 v66, v39, v31
	;; [unrolled: 1-line block ×3, first 2 shown]
	v_fma_f16 v29, v35, s3, v29
	v_fma_f16 v36, v38, s1, v36
	v_add_f16_e32 v66, v66, v67
	v_fma_f16 v29, v38, s4, v29
	v_fma_f16 v14, v14, s2, v18
	v_add_f16_e32 v18, v12, v39
	;; [unrolled: 3-line block ×3, first 2 shown]
	v_lshrrev_b32_e32 v40, 16, v12
	v_add_f16_e32 v18, v18, v31
	v_fma_f16 v12, v66, -0.5, v12
	v_add_f16_e32 v18, v18, v16
	v_fma_f16 v66, v38, s3, v12
	v_fma_f16 v12, v38, s0, v12
	v_add_f16_e32 v38, v1, v2
	v_add_f16_e32 v18, v18, v33
	v_sub_f16_e32 v67, v31, v39
	v_sub_f16_e32 v68, v16, v33
	v_fma_f16 v38, v38, -0.5, v40
	v_sub_f16_e32 v33, v39, v33
	v_fma_f16 v66, v35, s1, v66
	v_add_f16_e32 v67, v67, v68
	v_fma_f16 v12, v35, s4, v12
	v_fma_f16 v39, v33, s3, v38
	v_sub_f16_e32 v16, v31, v16
	v_fma_f16 v66, v67, s2, v66
	v_fma_f16 v12, v67, s2, v12
	;; [unrolled: 1-line block ×3, first 2 shown]
	v_sub_f16_e32 v39, v0, v1
	v_sub_f16_e32 v67, v3, v2
	v_fma_f16 v38, v33, s0, v38
	v_add_f16_e32 v35, v40, v0
	v_add_f16_e32 v39, v39, v67
	v_fma_f16 v38, v16, s1, v38
	v_add_f16_e32 v35, v35, v1
	v_fma_f16 v31, v39, s2, v31
	v_fma_f16 v38, v39, s2, v38
	v_add_f16_e32 v39, v0, v3
	v_add_f16_e32 v35, v35, v2
	v_fma_f16 v39, v39, -0.5, v40
	v_add_f16_e32 v35, v35, v3
	v_fma_f16 v40, v16, s0, v39
	v_sub_f16_e32 v0, v1, v0
	v_sub_f16_e32 v1, v2, v3
	v_add_f16_e32 v3, v32, v17
	v_fma_f16 v40, v33, s4, v40
	v_add_f16_e32 v0, v0, v1
	v_fma_f16 v2, v16, s3, v39
	v_fma_f16 v3, v3, -0.5, v13
	v_sub_f16_e32 v16, v4, v7
	v_fma_f16 v1, v0, s2, v40
	v_fma_f16 v2, v33, s1, v2
	;; [unrolled: 1-line block ×3, first 2 shown]
	v_sub_f16_e32 v39, v5, v6
	v_sub_f16_e32 v40, v30, v32
	;; [unrolled: 1-line block ×3, first 2 shown]
	v_fma_f16 v3, v16, s3, v3
	v_fma_f16 v33, v39, s1, v33
	v_add_f16_e32 v40, v40, v67
	v_fma_f16 v3, v39, s4, v3
	v_fma_f16 v33, v40, s2, v33
	;; [unrolled: 1-line block ×3, first 2 shown]
	v_add_f16_e32 v40, v30, v34
	v_lshrrev_b32_e32 v64, 16, v13
	v_fma_f16 v0, v0, s2, v2
	v_add_f16_e32 v2, v13, v30
	v_fma_f16 v13, v40, -0.5, v13
	v_add_f16_e32 v2, v2, v32
	v_fma_f16 v40, v39, s3, v13
	v_fma_f16 v13, v39, s0, v13
	v_add_f16_e32 v39, v5, v6
	v_add_f16_e32 v2, v2, v17
	v_sub_f16_e32 v67, v32, v30
	v_sub_f16_e32 v68, v17, v34
	v_fma_f16 v39, v39, -0.5, v64
	v_sub_f16_e32 v30, v30, v34
	v_add_f16_e32 v2, v2, v34
	v_fma_f16 v40, v16, s1, v40
	v_add_f16_e32 v67, v67, v68
	v_fma_f16 v13, v16, s4, v13
	v_fma_f16 v34, v30, s3, v39
	v_sub_f16_e32 v17, v32, v17
	v_fma_f16 v40, v67, s2, v40
	v_fma_f16 v13, v67, s2, v13
	;; [unrolled: 1-line block ×3, first 2 shown]
	v_sub_f16_e32 v34, v4, v5
	v_sub_f16_e32 v67, v7, v6
	v_fma_f16 v39, v30, s0, v39
	v_add_f16_e32 v34, v34, v67
	v_fma_f16 v39, v17, s1, v39
	v_add_f16_e32 v16, v64, v4
	v_fma_f16 v32, v34, s2, v32
	v_fma_f16 v34, v34, s2, v39
	v_add_f16_e32 v39, v4, v7
	v_add_f16_e32 v16, v16, v5
	v_fma_f16 v39, v39, -0.5, v64
	v_add_f16_e32 v16, v16, v6
	v_fma_f16 v64, v17, s0, v39
	v_sub_f16_e32 v4, v5, v4
	v_sub_f16_e32 v5, v6, v7
	v_fma_f16 v6, v17, s3, v39
	v_fma_f16 v64, v30, s4, v64
	v_add_f16_e32 v4, v4, v5
	v_fma_f16 v6, v30, s1, v6
	v_add_f16_e32 v16, v16, v7
	v_fma_f16 v5, v4, s2, v64
	v_fma_f16 v4, v4, s2, v6
	v_pack_b32_f16 v6, v41, v43
	v_pack_b32_f16 v7, v44, v37
	s_waitcnt lgkmcnt(0)
	; wave barrier
	ds_write2_b32 v46, v6, v7 offset1:13
	v_pack_b32_f16 v6, v65, v15
	v_pack_b32_f16 v7, v11, v14
	ds_write2_b32 v46, v6, v7 offset0:26 offset1:39
	v_pack_b32_f16 v6, v42, v62
	v_pack_b32_f16 v7, v18, v35
	ds_write2_b32 v46, v6, v7 offset0:52 offset1:65
	;; [unrolled: 3-line block ×6, first 2 shown]
	v_pack_b32_f16 v0, v3, v34
	ds_write_b32 v69, v0 offset:728
	s_waitcnt lgkmcnt(0)
	; wave barrier
	s_waitcnt lgkmcnt(0)
	ds_read2_b32 v[0:1], v46 offset1:13
	ds_read2_b32 v[2:3], v46 offset0:52 offset1:65
	ds_read2_b32 v[4:5], v46 offset0:130 offset1:143
	;; [unrolled: 1-line block ×5, first 2 shown]
	s_waitcnt lgkmcnt(4)
	v_lshrrev_b32_e32 v18, 16, v3
	v_mul_f16_sdwa v43, v19, v18 dst_sel:DWORD dst_unused:UNUSED_PAD src0_sel:WORD_1 src1_sel:DWORD
	s_waitcnt lgkmcnt(3)
	v_lshrrev_b32_e32 v29, 16, v4
	s_waitcnt lgkmcnt(2)
	v_lshrrev_b32_e32 v31, 16, v6
	v_fma_f16 v43, v19, v3, v43
	v_mul_f16_sdwa v3, v19, v3 dst_sel:DWORD dst_unused:UNUSED_PAD src0_sel:WORD_1 src1_sel:DWORD
	v_fma_f16 v3, v19, v18, -v3
	v_mul_f16_sdwa v18, v20, v29 dst_sel:DWORD dst_unused:UNUSED_PAD src0_sel:WORD_1 src1_sel:DWORD
	v_mul_f16_sdwa v19, v21, v31 dst_sel:DWORD dst_unused:UNUSED_PAD src0_sel:WORD_1 src1_sel:DWORD
	v_lshrrev_b32_e32 v32, 16, v5
	v_lshrrev_b32_e32 v34, 16, v7
	v_fma_f16 v18, v20, v4, v18
	v_mul_f16_sdwa v4, v20, v4 dst_sel:DWORD dst_unused:UNUSED_PAD src0_sel:WORD_1 src1_sel:DWORD
	v_fma_f16 v19, v21, v6, v19
	v_mul_f16_sdwa v6, v21, v6 dst_sel:DWORD dst_unused:UNUSED_PAD src0_sel:WORD_1 src1_sel:DWORD
	ds_read_b32 v37, v46 offset:728
	v_fma_f16 v4, v20, v29, -v4
	v_fma_f16 v6, v21, v31, -v6
	v_mul_f16_sdwa v20, v22, v32 dst_sel:DWORD dst_unused:UNUSED_PAD src0_sel:WORD_1 src1_sel:DWORD
	v_mul_f16_sdwa v21, v23, v34 dst_sel:DWORD dst_unused:UNUSED_PAD src0_sel:WORD_1 src1_sel:DWORD
	s_waitcnt lgkmcnt(2)
	v_lshrrev_b32_e32 v35, 16, v13
	s_waitcnt lgkmcnt(1)
	v_lshrrev_b32_e32 v38, 16, v15
	v_fma_f16 v20, v22, v5, v20
	v_mul_f16_sdwa v5, v22, v5 dst_sel:DWORD dst_unused:UNUSED_PAD src0_sel:WORD_1 src1_sel:DWORD
	v_fma_f16 v21, v23, v7, v21
	v_mul_f16_sdwa v7, v23, v7 dst_sel:DWORD dst_unused:UNUSED_PAD src0_sel:WORD_1 src1_sel:DWORD
	v_fma_f16 v5, v22, v32, -v5
	v_fma_f16 v7, v23, v34, -v7
	v_mul_f16_sdwa v22, v24, v35 dst_sel:DWORD dst_unused:UNUSED_PAD src0_sel:WORD_1 src1_sel:DWORD
	v_mul_f16_sdwa v23, v25, v38 dst_sel:DWORD dst_unused:UNUSED_PAD src0_sel:WORD_1 src1_sel:DWORD
	v_lshrrev_b32_e32 v39, 16, v14
	v_lshrrev_b32_e32 v41, 16, v16
	v_fma_f16 v22, v24, v13, v22
	v_mul_f16_sdwa v13, v24, v13 dst_sel:DWORD dst_unused:UNUSED_PAD src0_sel:WORD_1 src1_sel:DWORD
	v_fma_f16 v23, v25, v15, v23
	v_mul_f16_sdwa v15, v25, v15 dst_sel:DWORD dst_unused:UNUSED_PAD src0_sel:WORD_1 src1_sel:DWORD
	v_fma_f16 v13, v24, v35, -v13
	v_fma_f16 v15, v25, v38, -v15
	v_mul_f16_sdwa v24, v26, v39 dst_sel:DWORD dst_unused:UNUSED_PAD src0_sel:WORD_1 src1_sel:DWORD
	v_mul_f16_sdwa v25, v27, v41 dst_sel:DWORD dst_unused:UNUSED_PAD src0_sel:WORD_1 src1_sel:DWORD
	s_waitcnt lgkmcnt(0)
	v_lshrrev_b32_e32 v42, 16, v37
	v_fma_f16 v24, v26, v14, v24
	v_mul_f16_sdwa v14, v26, v14 dst_sel:DWORD dst_unused:UNUSED_PAD src0_sel:WORD_1 src1_sel:DWORD
	v_fma_f16 v25, v27, v16, v25
	v_mul_f16_sdwa v16, v27, v16 dst_sel:DWORD dst_unused:UNUSED_PAD src0_sel:WORD_1 src1_sel:DWORD
	v_fma_f16 v14, v26, v39, -v14
	v_fma_f16 v16, v27, v41, -v16
	v_mul_f16_sdwa v26, v28, v42 dst_sel:DWORD dst_unused:UNUSED_PAD src0_sel:WORD_1 src1_sel:DWORD
	v_mul_f16_sdwa v27, v28, v37 dst_sel:DWORD dst_unused:UNUSED_PAD src0_sel:WORD_1 src1_sel:DWORD
	v_add_f16_e32 v29, v43, v18
	v_lshrrev_b32_e32 v17, 16, v0
	v_fma_f16 v26, v28, v37, v26
	v_fma_f16 v27, v28, v42, -v27
	v_add_f16_e32 v28, v0, v43
	v_fma_f16 v0, v29, -0.5, v0
	v_sub_f16_e32 v29, v3, v4
	s_mov_b32 s0, 0xbaee
	s_movk_i32 s1, 0x3aee
	v_fma_f16 v31, v29, s0, v0
	v_fma_f16 v0, v29, s1, v0
	v_add_f16_e32 v29, v17, v3
	v_add_f16_e32 v3, v3, v4
	ds_read2_b32 v[11:12], v46 offset0:26 offset1:39
	v_add_f16_e32 v28, v28, v18
	v_add_f16_e32 v29, v29, v4
	v_fma_f16 v3, v3, -0.5, v17
	v_sub_f16_e32 v4, v43, v18
	v_add_f16_e32 v18, v19, v20
	v_lshrrev_b32_e32 v30, 16, v1
	v_fma_f16 v17, v4, s1, v3
	v_fma_f16 v3, v4, s0, v3
	v_add_f16_e32 v4, v1, v19
	v_fma_f16 v1, v18, -0.5, v1
	v_sub_f16_e32 v18, v6, v5
	v_fma_f16 v32, v18, s0, v1
	v_fma_f16 v1, v18, s1, v1
	v_add_f16_e32 v18, v30, v6
	v_add_f16_e32 v18, v18, v5
	;; [unrolled: 1-line block ×4, first 2 shown]
	v_fma_f16 v5, v5, -0.5, v30
	v_sub_f16_e32 v6, v19, v20
	v_add_f16_e32 v20, v21, v22
	s_waitcnt lgkmcnt(0)
	v_lshrrev_b32_e32 v33, 16, v11
	v_fma_f16 v19, v6, s1, v5
	v_fma_f16 v5, v6, s0, v5
	v_add_f16_e32 v6, v11, v21
	v_fma_f16 v11, v20, -0.5, v11
	v_sub_f16_e32 v20, v7, v13
	v_fma_f16 v30, v20, s0, v11
	v_fma_f16 v11, v20, s1, v11
	v_add_f16_e32 v20, v33, v7
	v_add_f16_e32 v7, v7, v13
	v_add_f16_e32 v6, v6, v22
	v_add_f16_e32 v20, v20, v13
	v_fma_f16 v7, v7, -0.5, v33
	v_sub_f16_e32 v13, v21, v22
	v_add_f16_e32 v22, v23, v24
	v_lshrrev_b32_e32 v36, 16, v12
	v_fma_f16 v21, v13, s1, v7
	v_fma_f16 v7, v13, s0, v7
	v_add_f16_e32 v13, v12, v23
	v_fma_f16 v12, v22, -0.5, v12
	v_sub_f16_e32 v22, v15, v14
	v_fma_f16 v33, v22, s0, v12
	v_fma_f16 v12, v22, s1, v12
	v_add_f16_e32 v22, v36, v15
	v_add_f16_e32 v22, v22, v14
	;; [unrolled: 1-line block ×4, first 2 shown]
	v_fma_f16 v14, v14, -0.5, v36
	v_sub_f16_e32 v15, v23, v24
	v_add_f16_e32 v24, v25, v26
	v_lshrrev_b32_e32 v40, 16, v2
	v_fma_f16 v23, v15, s1, v14
	v_fma_f16 v14, v15, s0, v14
	v_add_f16_e32 v15, v2, v25
	v_fma_f16 v2, v24, -0.5, v2
	v_sub_f16_e32 v24, v16, v27
	v_fma_f16 v34, v24, s0, v2
	v_fma_f16 v2, v24, s1, v2
	v_add_f16_e32 v24, v40, v16
	v_add_f16_e32 v16, v16, v27
	v_fma_f16 v16, v16, -0.5, v40
	v_sub_f16_e32 v25, v25, v26
	v_add_f16_e32 v15, v15, v26
	v_fma_f16 v26, v25, s1, v16
	v_fma_f16 v16, v25, s0, v16
	v_pack_b32_f16 v25, v28, v29
	v_pack_b32_f16 v0, v0, v3
	;; [unrolled: 1-line block ×3, first 2 shown]
	ds_write_b32 v46, v25
	v_pack_b32_f16 v17, v31, v17
	v_pack_b32_f16 v3, v4, v18
	;; [unrolled: 1-line block ×3, first 2 shown]
	ds_write2_b32 v63, v0, v1 offset0:130 offset1:143
	v_pack_b32_f16 v0, v6, v20
	ds_write2_b32 v63, v17, v4 offset0:65 offset1:78
	ds_write2_b32 v63, v3, v0 offset0:13 offset1:26
	v_pack_b32_f16 v0, v30, v21
	v_pack_b32_f16 v4, v33, v23
	v_add_f16_e32 v24, v24, v27
	v_pack_b32_f16 v1, v11, v7
	ds_write2_b32 v63, v0, v4 offset0:91 offset1:104
	v_pack_b32_f16 v0, v12, v14
	v_pack_b32_f16 v3, v13, v22
	ds_write2_b32 v63, v1, v0 offset0:156 offset1:169
	v_pack_b32_f16 v0, v15, v24
	ds_write2_b32 v63, v3, v0 offset0:39 offset1:52
	v_pack_b32_f16 v0, v34, v26
	v_pack_b32_f16 v1, v2, v16
	ds_write2_b32 v79, v0, v1 offset0:65 offset1:130
	s_waitcnt lgkmcnt(0)
	; wave barrier
	s_waitcnt lgkmcnt(0)
	ds_read2_b32 v[0:1], v46 offset1:15
	s_mov_b32 s12, 0x15015015
	s_mov_b32 s13, 0x3f750150
	v_mad_u64_u32 v[3:4], s[0:1], s10, v10, 0
	s_waitcnt lgkmcnt(0)
	v_lshrrev_b32_e32 v7, 16, v0
	v_mul_f16_sdwa v2, v61, v7 dst_sel:DWORD dst_unused:UNUSED_PAD src0_sel:WORD_1 src1_sel:DWORD
	v_fma_f16 v2, v61, v0, v2
	v_cvt_f32_f16_e32 v2, v2
	s_movk_i32 s15, 0x1ff
	s_movk_i32 s10, 0xffe
	v_mul_f16_sdwa v0, v61, v0 dst_sel:DWORD dst_unused:UNUSED_PAD src0_sel:WORD_1 src1_sel:DWORD
	v_cvt_f64_f32_e32 v[5:6], v2
	v_mov_b32_e32 v2, v4
	v_mad_u64_u32 v[10:11], s[0:1], s11, v10, v[2:3]
	v_mul_f64 v[5:6], v[5:6], s[12:13]
	v_fma_f16 v0, v61, v7, -v0
	v_mov_b32_e32 v4, v10
	v_cvt_f32_f16_e32 v0, v0
	s_movk_i32 s11, 0x40f
	s_mov_b32 s14, 0x8000
	v_lshlrev_b64 v[3:4], 2, v[3:4]
	s_mul_hi_u32 s4, s8, 60
	v_and_or_b32 v2, v6, s15, v5
	v_cmp_ne_u32_e64 s[0:1], 0, v2
	v_cndmask_b32_e64 v2, 0, 1, s[0:1]
	v_lshrrev_b32_e32 v5, 8, v6
	v_bfe_u32 v10, v6, 20, 11
	v_and_or_b32 v5, v5, s10, v2
	v_sub_u32_e32 v11, 0x3f1, v10
	v_or_b32_e32 v2, 0x1000, v5
	v_med3_i32 v11, v11, 0, 13
	v_lshrrev_b32_e32 v12, v11, v2
	v_lshlrev_b32_e32 v11, v11, v12
	v_cmp_ne_u32_e64 s[0:1], v11, v2
	v_cndmask_b32_e64 v2, 0, 1, s[0:1]
	v_or_b32_e32 v2, v12, v2
	v_add_u32_e32 v12, 0xfffffc10, v10
	v_lshl_or_b32 v10, v12, 12, v5
	v_cmp_gt_i32_e64 s[0:1], 1, v12
	v_cndmask_b32_e64 v2, v10, v2, s[0:1]
	v_and_b32_e32 v10, 7, v2
	v_cmp_lt_i32_e64 s[0:1], 5, v10
	v_cmp_eq_u32_e64 s[2:3], 3, v10
	v_cvt_f64_f32_e32 v[10:11], v0
	v_lshrrev_b32_e32 v2, 2, v2
	s_or_b64 s[0:1], s[2:3], s[0:1]
	v_addc_co_u32_e64 v7, s[0:1], 0, v2, s[0:1]
	v_mul_f64 v[10:11], v[10:11], s[12:13]
	v_mov_b32_e32 v2, 0x7c00
	v_cmp_gt_i32_e64 s[0:1], 31, v12
	v_cndmask_b32_e64 v0, v2, v7, s[0:1]
	v_cmp_ne_u32_e64 s[0:1], 0, v5
	v_cndmask_b32_e64 v5, 0, 1, s[0:1]
	v_lshl_or_b32 v5, v5, 9, v2
	v_cmp_eq_u32_e64 s[0:1], s11, v12
	v_cndmask_b32_e64 v0, v0, v5, s[0:1]
	v_lshrrev_b32_e32 v5, 16, v6
	v_and_or_b32 v12, v5, s14, v0
	v_and_or_b32 v0, v11, s15, v10
	v_cmp_ne_u32_e64 s[0:1], 0, v0
	v_cndmask_b32_e64 v0, 0, 1, s[0:1]
	v_lshrrev_b32_e32 v5, 8, v11
	v_bfe_u32 v6, v11, 20, 11
	v_and_or_b32 v0, v5, s10, v0
	v_sub_u32_e32 v7, 0x3f1, v6
	v_or_b32_e32 v5, 0x1000, v0
	v_med3_i32 v7, v7, 0, 13
	v_lshrrev_b32_e32 v10, v7, v5
	v_lshlrev_b32_e32 v7, v7, v10
	v_cmp_ne_u32_e64 s[0:1], v7, v5
	v_cndmask_b32_e64 v5, 0, 1, s[0:1]
	v_add_u32_e32 v7, 0xfffffc10, v6
	v_or_b32_e32 v5, v10, v5
	v_lshl_or_b32 v6, v7, 12, v0
	v_cmp_gt_i32_e64 s[0:1], 1, v7
	v_cndmask_b32_e64 v5, v6, v5, s[0:1]
	v_and_b32_e32 v6, 7, v5
	v_cmp_lt_i32_e64 s[0:1], 5, v6
	v_cmp_eq_u32_e64 s[2:3], 3, v6
	v_lshrrev_b32_e32 v5, 2, v5
	s_or_b64 s[0:1], s[2:3], s[0:1]
	v_addc_co_u32_e64 v5, s[0:1], 0, v5, s[0:1]
	v_cmp_gt_i32_e64 s[0:1], 31, v7
	v_cndmask_b32_e64 v10, v2, v5, s[0:1]
	v_cmp_ne_u32_e64 s[0:1], 0, v0
	v_cndmask_b32_e64 v0, 0, 1, s[0:1]
	v_mad_u64_u32 v[5:6], s[0:1], s8, v45, 0
	v_lshl_or_b32 v0, v0, 9, v2
	v_cmp_eq_u32_e64 s[0:1], s11, v7
	v_cndmask_b32_e64 v10, v10, v0, s[0:1]
	v_mov_b32_e32 v0, v6
	v_mad_u64_u32 v[6:7], s[0:1], s9, v45, v[0:1]
	v_lshrrev_b32_e32 v0, 16, v1
	v_mul_f16_sdwa v7, v60, v0 dst_sel:DWORD dst_unused:UNUSED_PAD src0_sel:WORD_1 src1_sel:DWORD
	v_fma_f16 v7, v60, v1, v7
	v_cvt_f32_f16_e32 v7, v7
	v_lshrrev_b32_e32 v11, 16, v11
	v_and_or_b32 v13, v11, s14, v10
	v_and_b32_e32 v12, 0xffff, v12
	v_cvt_f64_f32_e32 v[10:11], v7
	v_lshl_or_b32 v7, v13, 16, v12
	v_mov_b32_e32 v12, s7
	v_add_co_u32_e64 v3, s[0:1], s6, v3
	v_mul_f64 v[10:11], v[10:11], s[12:13]
	v_lshlrev_b64 v[5:6], 2, v[5:6]
	v_addc_co_u32_e64 v4, s[0:1], v12, v4, s[0:1]
	v_add_co_u32_e64 v5, s[0:1], v3, v5
	v_addc_co_u32_e64 v6, s[0:1], v4, v6, s[0:1]
	global_store_dword v[5:6], v7, off
	v_and_or_b32 v7, v11, s15, v10
	v_mul_f16_sdwa v1, v60, v1 dst_sel:DWORD dst_unused:UNUSED_PAD src0_sel:WORD_1 src1_sel:DWORD
	v_cmp_ne_u32_e64 s[0:1], 0, v7
	v_fma_f16 v0, v60, v0, -v1
	v_cndmask_b32_e64 v7, 0, 1, s[0:1]
	v_lshrrev_b32_e32 v10, 8, v11
	v_bfe_u32 v12, v11, 20, 11
	v_cvt_f32_f16_e32 v0, v0
	v_and_or_b32 v7, v10, s10, v7
	v_sub_u32_e32 v13, 0x3f1, v12
	v_or_b32_e32 v10, 0x1000, v7
	v_med3_i32 v13, v13, 0, 13
	v_lshrrev_b32_e32 v14, v13, v10
	v_lshlrev_b32_e32 v13, v13, v14
	v_cvt_f64_f32_e32 v[0:1], v0
	v_cmp_ne_u32_e64 s[0:1], v13, v10
	v_cndmask_b32_e64 v10, 0, 1, s[0:1]
	v_add_u32_e32 v12, 0xfffffc10, v12
	v_or_b32_e32 v10, v14, v10
	v_lshl_or_b32 v13, v12, 12, v7
	v_cmp_gt_i32_e64 s[0:1], 1, v12
	v_cndmask_b32_e64 v10, v13, v10, s[0:1]
	v_mul_f64 v[0:1], v[0:1], s[12:13]
	v_and_b32_e32 v13, 7, v10
	v_cmp_lt_i32_e64 s[0:1], 5, v13
	v_cmp_eq_u32_e64 s[2:3], 3, v13
	v_lshrrev_b32_e32 v10, 2, v10
	s_or_b64 s[0:1], s[2:3], s[0:1]
	v_addc_co_u32_e64 v10, s[0:1], 0, v10, s[0:1]
	v_cmp_gt_i32_e64 s[0:1], 31, v12
	v_cndmask_b32_e64 v10, v2, v10, s[0:1]
	v_cmp_ne_u32_e64 s[0:1], 0, v7
	v_cndmask_b32_e64 v7, 0, 1, s[0:1]
	v_lshl_or_b32 v7, v7, 9, v2
	v_cmp_eq_u32_e64 s[0:1], s11, v12
	v_and_or_b32 v0, v1, s15, v0
	v_cndmask_b32_e64 v7, v10, v7, s[0:1]
	v_lshrrev_b32_e32 v10, 16, v11
	v_cmp_ne_u32_e64 s[0:1], 0, v0
	v_and_or_b32 v7, v10, s14, v7
	v_cndmask_b32_e64 v0, 0, 1, s[0:1]
	v_lshrrev_b32_e32 v10, 8, v1
	v_bfe_u32 v11, v1, 20, 11
	v_and_or_b32 v0, v10, s10, v0
	v_sub_u32_e32 v12, 0x3f1, v11
	v_or_b32_e32 v10, 0x1000, v0
	v_med3_i32 v12, v12, 0, 13
	v_lshrrev_b32_e32 v13, v12, v10
	v_lshlrev_b32_e32 v12, v12, v13
	v_cmp_ne_u32_e64 s[0:1], v12, v10
	v_cndmask_b32_e64 v10, 0, 1, s[0:1]
	v_add_u32_e32 v12, 0xfffffc10, v11
	v_or_b32_e32 v10, v13, v10
	v_lshl_or_b32 v11, v12, 12, v0
	v_cmp_gt_i32_e64 s[0:1], 1, v12
	v_cndmask_b32_e64 v10, v11, v10, s[0:1]
	v_and_b32_e32 v11, 7, v10
	v_cmp_lt_i32_e64 s[0:1], 5, v11
	v_cmp_eq_u32_e64 s[2:3], 3, v11
	v_lshrrev_b32_e32 v10, 2, v10
	s_or_b64 s[0:1], s[2:3], s[0:1]
	v_addc_co_u32_e64 v10, s[0:1], 0, v10, s[0:1]
	v_cmp_gt_i32_e64 s[0:1], 31, v12
	v_cndmask_b32_e64 v13, v2, v10, s[0:1]
	ds_read2_b32 v[10:11], v46 offset0:30 offset1:45
	v_cmp_ne_u32_e64 s[0:1], 0, v0
	v_cndmask_b32_e64 v0, 0, 1, s[0:1]
	v_lshl_or_b32 v0, v0, 9, v2
	v_cmp_eq_u32_e64 s[0:1], s11, v12
	s_waitcnt lgkmcnt(0)
	v_lshrrev_b32_e32 v12, 16, v10
	v_cndmask_b32_e64 v0, v13, v0, s[0:1]
	v_mul_f16_sdwa v13, v59, v12 dst_sel:DWORD dst_unused:UNUSED_PAD src0_sel:WORD_1 src1_sel:DWORD
	v_fma_f16 v13, v59, v10, v13
	v_cvt_f32_f16_e32 v13, v13
	v_lshrrev_b32_e32 v1, 16, v1
	v_and_or_b32 v0, v1, s14, v0
	v_and_b32_e32 v1, 0xffff, v7
	v_lshl_or_b32 v7, v0, 16, v1
	v_cvt_f64_f32_e32 v[0:1], v13
	s_mul_i32 s0, s9, 60
	s_add_i32 s4, s4, s0
	s_mul_i32 s5, s8, 60
	v_mul_f64 v[0:1], v[0:1], s[12:13]
	v_mov_b32_e32 v13, s4
	v_add_co_u32_e64 v5, s[0:1], s5, v5
	v_addc_co_u32_e64 v6, s[0:1], v6, v13, s[0:1]
	global_store_dword v[5:6], v7, off
	v_mul_f16_sdwa v10, v59, v10 dst_sel:DWORD dst_unused:UNUSED_PAD src0_sel:WORD_1 src1_sel:DWORD
	v_and_or_b32 v0, v1, s15, v0
	v_cmp_ne_u32_e64 s[0:1], 0, v0
	v_cndmask_b32_e64 v0, 0, 1, s[0:1]
	v_lshrrev_b32_e32 v7, 8, v1
	v_bfe_u32 v13, v1, 20, 11
	v_and_or_b32 v0, v7, s10, v0
	v_sub_u32_e32 v14, 0x3f1, v13
	v_or_b32_e32 v7, 0x1000, v0
	v_med3_i32 v14, v14, 0, 13
	v_lshrrev_b32_e32 v15, v14, v7
	v_lshlrev_b32_e32 v14, v14, v15
	v_cmp_ne_u32_e64 s[0:1], v14, v7
	v_fma_f16 v10, v59, v12, -v10
	v_cndmask_b32_e64 v7, 0, 1, s[0:1]
	v_add_u32_e32 v14, 0xfffffc10, v13
	v_cvt_f32_f16_e32 v10, v10
	v_or_b32_e32 v7, v15, v7
	v_lshl_or_b32 v13, v14, 12, v0
	v_cmp_gt_i32_e64 s[0:1], 1, v14
	v_cndmask_b32_e64 v7, v13, v7, s[0:1]
	v_and_b32_e32 v13, 7, v7
	v_cmp_lt_i32_e64 s[0:1], 5, v13
	v_cmp_eq_u32_e64 s[2:3], 3, v13
	v_cvt_f64_f32_e32 v[12:13], v10
	v_lshrrev_b32_e32 v7, 2, v7
	s_or_b64 s[0:1], s[2:3], s[0:1]
	v_addc_co_u32_e64 v7, s[0:1], 0, v7, s[0:1]
	v_mul_f64 v[12:13], v[12:13], s[12:13]
	v_cmp_gt_i32_e64 s[0:1], 31, v14
	v_cndmask_b32_e64 v7, v2, v7, s[0:1]
	v_cmp_ne_u32_e64 s[0:1], 0, v0
	v_cndmask_b32_e64 v0, 0, 1, s[0:1]
	v_lshl_or_b32 v0, v0, 9, v2
	v_cmp_eq_u32_e64 s[0:1], s11, v14
	v_cndmask_b32_e64 v0, v7, v0, s[0:1]
	v_lshrrev_b32_e32 v1, 16, v1
	v_and_or_b32 v7, v1, s14, v0
	v_and_or_b32 v0, v13, s15, v12
	v_cmp_ne_u32_e64 s[0:1], 0, v0
	v_cndmask_b32_e64 v0, 0, 1, s[0:1]
	v_lshrrev_b32_e32 v1, 8, v13
	v_bfe_u32 v10, v13, 20, 11
	v_and_or_b32 v0, v1, s10, v0
	v_sub_u32_e32 v12, 0x3f1, v10
	v_or_b32_e32 v1, 0x1000, v0
	v_med3_i32 v12, v12, 0, 13
	v_lshrrev_b32_e32 v14, v12, v1
	v_lshlrev_b32_e32 v12, v12, v14
	v_cmp_ne_u32_e64 s[0:1], v12, v1
	v_cndmask_b32_e64 v1, 0, 1, s[0:1]
	v_add_u32_e32 v10, 0xfffffc10, v10
	v_or_b32_e32 v1, v14, v1
	v_lshl_or_b32 v12, v10, 12, v0
	v_cmp_gt_i32_e64 s[0:1], 1, v10
	v_cndmask_b32_e64 v1, v12, v1, s[0:1]
	v_and_b32_e32 v12, 7, v1
	v_cmp_lt_i32_e64 s[0:1], 5, v12
	v_cmp_eq_u32_e64 s[2:3], 3, v12
	v_lshrrev_b32_e32 v12, 16, v11
	v_lshrrev_b32_e32 v1, 2, v1
	s_or_b64 s[0:1], s[2:3], s[0:1]
	v_mul_f16_sdwa v14, v58, v12 dst_sel:DWORD dst_unused:UNUSED_PAD src0_sel:WORD_1 src1_sel:DWORD
	v_addc_co_u32_e64 v1, s[0:1], 0, v1, s[0:1]
	v_fma_f16 v14, v58, v11, v14
	v_cmp_gt_i32_e64 s[0:1], 31, v10
	v_cvt_f32_f16_e32 v14, v14
	v_cndmask_b32_e64 v1, v2, v1, s[0:1]
	v_cmp_ne_u32_e64 s[0:1], 0, v0
	v_cndmask_b32_e64 v0, 0, 1, s[0:1]
	v_lshl_or_b32 v0, v0, 9, v2
	v_cmp_eq_u32_e64 s[0:1], s11, v10
	v_cndmask_b32_e64 v10, v1, v0, s[0:1]
	v_cvt_f64_f32_e32 v[0:1], v14
	v_lshrrev_b32_e32 v13, 16, v13
	v_and_or_b32 v10, v13, s14, v10
	v_and_b32_e32 v7, 0xffff, v7
	v_mul_f64 v[0:1], v[0:1], s[12:13]
	v_lshl_or_b32 v7, v10, 16, v7
	v_mov_b32_e32 v10, s4
	v_add_co_u32_e64 v5, s[0:1], s5, v5
	v_addc_co_u32_e64 v6, s[0:1], v6, v10, s[0:1]
	global_store_dword v[5:6], v7, off
	v_and_or_b32 v0, v1, s15, v0
	v_cmp_ne_u32_e64 s[0:1], 0, v0
	v_cndmask_b32_e64 v0, 0, 1, s[0:1]
	v_lshrrev_b32_e32 v7, 8, v1
	v_bfe_u32 v10, v1, 20, 11
	v_and_or_b32 v0, v7, s10, v0
	v_sub_u32_e32 v13, 0x3f1, v10
	v_or_b32_e32 v7, 0x1000, v0
	v_med3_i32 v13, v13, 0, 13
	v_lshrrev_b32_e32 v14, v13, v7
	v_lshlrev_b32_e32 v13, v13, v14
	v_mul_f16_sdwa v11, v58, v11 dst_sel:DWORD dst_unused:UNUSED_PAD src0_sel:WORD_1 src1_sel:DWORD
	v_cmp_ne_u32_e64 s[0:1], v13, v7
	v_fma_f16 v11, v58, v12, -v11
	v_cndmask_b32_e64 v7, 0, 1, s[0:1]
	v_add_u32_e32 v13, 0xfffffc10, v10
	v_cvt_f32_f16_e32 v11, v11
	v_or_b32_e32 v7, v14, v7
	v_lshl_or_b32 v10, v13, 12, v0
	v_cmp_gt_i32_e64 s[0:1], 1, v13
	v_cndmask_b32_e64 v7, v10, v7, s[0:1]
	v_and_b32_e32 v10, 7, v7
	v_cmp_lt_i32_e64 s[0:1], 5, v10
	v_cmp_eq_u32_e64 s[2:3], 3, v10
	v_cvt_f64_f32_e32 v[10:11], v11
	v_lshrrev_b32_e32 v7, 2, v7
	s_or_b64 s[0:1], s[2:3], s[0:1]
	v_addc_co_u32_e64 v7, s[0:1], 0, v7, s[0:1]
	v_mul_f64 v[10:11], v[10:11], s[12:13]
	v_cmp_gt_i32_e64 s[0:1], 31, v13
	v_cndmask_b32_e64 v7, v2, v7, s[0:1]
	v_cmp_ne_u32_e64 s[0:1], 0, v0
	v_cndmask_b32_e64 v0, 0, 1, s[0:1]
	v_lshl_or_b32 v0, v0, 9, v2
	v_cmp_eq_u32_e64 s[0:1], s11, v13
	v_cndmask_b32_e64 v0, v7, v0, s[0:1]
	v_lshrrev_b32_e32 v1, 16, v1
	v_and_or_b32 v7, v1, s14, v0
	v_and_or_b32 v0, v11, s15, v10
	v_cmp_ne_u32_e64 s[0:1], 0, v0
	v_cndmask_b32_e64 v0, 0, 1, s[0:1]
	v_lshrrev_b32_e32 v1, 8, v11
	v_and_or_b32 v10, v1, s10, v0
	v_bfe_u32 v1, v11, 20, 11
	v_sub_u32_e32 v12, 0x3f1, v1
	v_or_b32_e32 v0, 0x1000, v10
	v_med3_i32 v12, v12, 0, 13
	v_lshrrev_b32_e32 v13, v12, v0
	v_lshlrev_b32_e32 v12, v12, v13
	v_cmp_ne_u32_e64 s[0:1], v12, v0
	v_cndmask_b32_e64 v0, 0, 1, s[0:1]
	v_add_u32_e32 v12, 0xfffffc10, v1
	v_or_b32_e32 v0, v13, v0
	v_lshl_or_b32 v1, v12, 12, v10
	v_cmp_gt_i32_e64 s[0:1], 1, v12
	v_cndmask_b32_e64 v0, v1, v0, s[0:1]
	v_and_b32_e32 v1, 7, v0
	v_cmp_lt_i32_e64 s[0:1], 5, v1
	v_cmp_eq_u32_e64 s[2:3], 3, v1
	v_lshrrev_b32_e32 v0, 2, v0
	s_or_b64 s[0:1], s[2:3], s[0:1]
	v_addc_co_u32_e64 v13, s[0:1], 0, v0, s[0:1]
	ds_read2_b32 v[0:1], v46 offset0:60 offset1:75
	v_cmp_gt_i32_e64 s[0:1], 31, v12
	v_cndmask_b32_e64 v13, v2, v13, s[0:1]
	v_cmp_ne_u32_e64 s[0:1], 0, v10
	v_cndmask_b32_e64 v10, 0, 1, s[0:1]
	s_waitcnt lgkmcnt(0)
	v_lshrrev_b32_e32 v14, 16, v0
	v_mul_f16_sdwa v15, v57, v14 dst_sel:DWORD dst_unused:UNUSED_PAD src0_sel:WORD_1 src1_sel:DWORD
	v_fma_f16 v15, v57, v0, v15
	v_cvt_f32_f16_e32 v15, v15
	v_lshl_or_b32 v10, v10, 9, v2
	v_cmp_eq_u32_e64 s[0:1], s11, v12
	v_cndmask_b32_e64 v10, v13, v10, s[0:1]
	v_cvt_f64_f32_e32 v[12:13], v15
	v_lshrrev_b32_e32 v11, 16, v11
	v_and_or_b32 v15, v11, s14, v10
	v_and_b32_e32 v7, 0xffff, v7
	v_mul_f64 v[10:11], v[12:13], s[12:13]
	v_mov_b32_e32 v12, s4
	v_add_co_u32_e64 v5, s[0:1], s5, v5
	v_lshl_or_b32 v7, v15, 16, v7
	v_addc_co_u32_e64 v6, s[0:1], v6, v12, s[0:1]
	global_store_dword v[5:6], v7, off
	v_and_or_b32 v7, v11, s15, v10
	v_cmp_ne_u32_e64 s[0:1], 0, v7
	v_cndmask_b32_e64 v7, 0, 1, s[0:1]
	v_lshrrev_b32_e32 v10, 8, v11
	v_bfe_u32 v12, v11, 20, 11
	v_and_or_b32 v7, v10, s10, v7
	v_sub_u32_e32 v13, 0x3f1, v12
	v_or_b32_e32 v10, 0x1000, v7
	v_med3_i32 v13, v13, 0, 13
	v_lshrrev_b32_e32 v15, v13, v10
	v_lshlrev_b32_e32 v13, v13, v15
	v_cmp_ne_u32_e64 s[0:1], v13, v10
	v_mul_f16_sdwa v0, v57, v0 dst_sel:DWORD dst_unused:UNUSED_PAD src0_sel:WORD_1 src1_sel:DWORD
	v_cndmask_b32_e64 v10, 0, 1, s[0:1]
	v_fma_f16 v0, v57, v14, -v0
	v_or_b32_e32 v10, v15, v10
	v_add_u32_e32 v15, 0xfffffc10, v12
	v_cvt_f32_f16_e32 v0, v0
	v_lshl_or_b32 v12, v15, 12, v7
	v_cmp_gt_i32_e64 s[0:1], 1, v15
	v_cndmask_b32_e64 v10, v12, v10, s[0:1]
	v_and_b32_e32 v12, 7, v10
	v_cmp_lt_i32_e64 s[0:1], 5, v12
	v_cmp_eq_u32_e64 s[2:3], 3, v12
	v_cvt_f64_f32_e32 v[12:13], v0
	v_lshrrev_b32_e32 v10, 2, v10
	s_or_b64 s[0:1], s[2:3], s[0:1]
	v_addc_co_u32_e64 v0, s[0:1], 0, v10, s[0:1]
	v_mul_f64 v[12:13], v[12:13], s[12:13]
	v_cmp_gt_i32_e64 s[0:1], 31, v15
	v_cndmask_b32_e64 v0, v2, v0, s[0:1]
	v_cmp_ne_u32_e64 s[0:1], 0, v7
	v_cndmask_b32_e64 v7, 0, 1, s[0:1]
	v_lshl_or_b32 v7, v7, 9, v2
	v_cmp_eq_u32_e64 s[0:1], s11, v15
	v_cndmask_b32_e64 v0, v0, v7, s[0:1]
	v_lshrrev_b32_e32 v7, 16, v11
	v_and_or_b32 v0, v7, s14, v0
	v_and_or_b32 v7, v13, s15, v12
	v_cmp_ne_u32_e64 s[0:1], 0, v7
	v_cndmask_b32_e64 v7, 0, 1, s[0:1]
	v_lshrrev_b32_e32 v10, 8, v13
	v_bfe_u32 v11, v13, 20, 11
	v_and_or_b32 v7, v10, s10, v7
	v_sub_u32_e32 v12, 0x3f1, v11
	v_or_b32_e32 v10, 0x1000, v7
	v_med3_i32 v12, v12, 0, 13
	v_lshrrev_b32_e32 v14, v12, v10
	v_lshlrev_b32_e32 v12, v12, v14
	v_cmp_ne_u32_e64 s[0:1], v12, v10
	v_cndmask_b32_e64 v10, 0, 1, s[0:1]
	v_add_u32_e32 v11, 0xfffffc10, v11
	v_or_b32_e32 v10, v14, v10
	v_lshl_or_b32 v12, v11, 12, v7
	v_cmp_gt_i32_e64 s[0:1], 1, v11
	v_cndmask_b32_e64 v10, v12, v10, s[0:1]
	v_and_b32_e32 v12, 7, v10
	v_cmp_lt_i32_e64 s[0:1], 5, v12
	v_cmp_eq_u32_e64 s[2:3], 3, v12
	v_lshrrev_b32_e32 v12, 16, v1
	v_lshrrev_b32_e32 v10, 2, v10
	s_or_b64 s[0:1], s[2:3], s[0:1]
	v_mul_f16_sdwa v14, v56, v12 dst_sel:DWORD dst_unused:UNUSED_PAD src0_sel:WORD_1 src1_sel:DWORD
	v_addc_co_u32_e64 v10, s[0:1], 0, v10, s[0:1]
	v_fma_f16 v14, v56, v1, v14
	v_cmp_gt_i32_e64 s[0:1], 31, v11
	v_cvt_f32_f16_e32 v14, v14
	v_cndmask_b32_e64 v10, v2, v10, s[0:1]
	v_cmp_ne_u32_e64 s[0:1], 0, v7
	v_cndmask_b32_e64 v7, 0, 1, s[0:1]
	v_lshl_or_b32 v7, v7, 9, v2
	v_cmp_eq_u32_e64 s[0:1], s11, v11
	v_cndmask_b32_e64 v7, v10, v7, s[0:1]
	v_cvt_f64_f32_e32 v[10:11], v14
	v_lshrrev_b32_e32 v13, 16, v13
	v_and_or_b32 v7, v13, s14, v7
	v_and_b32_e32 v0, 0xffff, v0
	v_mul_f64 v[10:11], v[10:11], s[12:13]
	v_lshl_or_b32 v0, v7, 16, v0
	v_mov_b32_e32 v7, s4
	v_add_co_u32_e64 v5, s[0:1], s5, v5
	v_addc_co_u32_e64 v6, s[0:1], v6, v7, s[0:1]
	global_store_dword v[5:6], v0, off
	v_and_or_b32 v0, v11, s15, v10
	v_cmp_ne_u32_e64 s[0:1], 0, v0
	v_cndmask_b32_e64 v0, 0, 1, s[0:1]
	v_lshrrev_b32_e32 v7, 8, v11
	v_bfe_u32 v10, v11, 20, 11
	v_and_or_b32 v7, v7, s10, v0
	v_sub_u32_e32 v13, 0x3f1, v10
	v_or_b32_e32 v0, 0x1000, v7
	v_med3_i32 v13, v13, 0, 13
	v_lshrrev_b32_e32 v14, v13, v0
	v_mul_f16_sdwa v1, v56, v1 dst_sel:DWORD dst_unused:UNUSED_PAD src0_sel:WORD_1 src1_sel:DWORD
	v_lshlrev_b32_e32 v13, v13, v14
	v_fma_f16 v1, v56, v12, -v1
	v_cmp_ne_u32_e64 s[0:1], v13, v0
	v_cvt_f32_f16_e32 v1, v1
	v_cndmask_b32_e64 v0, 0, 1, s[0:1]
	v_add_u32_e32 v10, 0xfffffc10, v10
	v_or_b32_e32 v0, v14, v0
	v_lshl_or_b32 v13, v10, 12, v7
	v_cmp_gt_i32_e64 s[0:1], 1, v10
	v_cndmask_b32_e64 v0, v13, v0, s[0:1]
	v_and_b32_e32 v13, 7, v0
	v_lshrrev_b32_e32 v12, 2, v0
	v_cvt_f64_f32_e32 v[0:1], v1
	v_cmp_lt_i32_e64 s[0:1], 5, v13
	v_cmp_eq_u32_e64 s[2:3], 3, v13
	s_or_b64 s[0:1], s[2:3], s[0:1]
	v_mul_f64 v[0:1], v[0:1], s[12:13]
	v_addc_co_u32_e64 v12, s[0:1], 0, v12, s[0:1]
	v_cmp_gt_i32_e64 s[0:1], 31, v10
	v_cndmask_b32_e64 v12, v2, v12, s[0:1]
	v_cmp_ne_u32_e64 s[0:1], 0, v7
	v_cndmask_b32_e64 v7, 0, 1, s[0:1]
	v_lshl_or_b32 v7, v7, 9, v2
	v_cmp_eq_u32_e64 s[0:1], s11, v10
	v_and_or_b32 v0, v1, s15, v0
	v_cndmask_b32_e64 v7, v12, v7, s[0:1]
	v_lshrrev_b32_e32 v10, 16, v11
	v_cmp_ne_u32_e64 s[0:1], 0, v0
	v_and_or_b32 v7, v10, s14, v7
	v_cndmask_b32_e64 v0, 0, 1, s[0:1]
	v_lshrrev_b32_e32 v10, 8, v1
	v_bfe_u32 v11, v1, 20, 11
	v_and_or_b32 v0, v10, s10, v0
	v_sub_u32_e32 v12, 0x3f1, v11
	v_or_b32_e32 v10, 0x1000, v0
	v_med3_i32 v12, v12, 0, 13
	v_lshrrev_b32_e32 v13, v12, v10
	v_lshlrev_b32_e32 v12, v12, v13
	v_cmp_ne_u32_e64 s[0:1], v12, v10
	v_cndmask_b32_e64 v10, 0, 1, s[0:1]
	v_add_u32_e32 v12, 0xfffffc10, v11
	v_or_b32_e32 v10, v13, v10
	v_lshl_or_b32 v11, v12, 12, v0
	v_cmp_gt_i32_e64 s[0:1], 1, v12
	v_cndmask_b32_e64 v10, v11, v10, s[0:1]
	v_and_b32_e32 v11, 7, v10
	v_cmp_lt_i32_e64 s[0:1], 5, v11
	v_cmp_eq_u32_e64 s[2:3], 3, v11
	v_lshrrev_b32_e32 v10, 2, v10
	s_or_b64 s[0:1], s[2:3], s[0:1]
	v_addc_co_u32_e64 v13, s[0:1], 0, v10, s[0:1]
	ds_read2_b32 v[10:11], v46 offset0:90 offset1:105
	v_cmp_gt_i32_e64 s[0:1], 31, v12
	v_cndmask_b32_e64 v13, v2, v13, s[0:1]
	v_cmp_ne_u32_e64 s[0:1], 0, v0
	v_cndmask_b32_e64 v0, 0, 1, s[0:1]
	s_waitcnt lgkmcnt(0)
	v_lshrrev_b32_e32 v14, 16, v10
	v_mul_f16_sdwa v15, v55, v14 dst_sel:DWORD dst_unused:UNUSED_PAD src0_sel:WORD_1 src1_sel:DWORD
	v_fma_f16 v15, v55, v10, v15
	v_cvt_f32_f16_e32 v15, v15
	v_lshl_or_b32 v0, v0, 9, v2
	v_cmp_eq_u32_e64 s[0:1], s11, v12
	v_cndmask_b32_e64 v0, v13, v0, s[0:1]
	v_cvt_f64_f32_e32 v[12:13], v15
	v_lshrrev_b32_e32 v1, 16, v1
	v_and_or_b32 v15, v1, s14, v0
	v_add_co_u32_e64 v5, s[0:1], s5, v5
	v_mul_f64 v[0:1], v[12:13], s[12:13]
	v_mov_b32_e32 v12, s4
	v_and_b32_e32 v7, 0xffff, v7
	v_addc_co_u32_e64 v6, s[0:1], v6, v12, s[0:1]
	v_lshl_or_b32 v7, v15, 16, v7
	global_store_dword v[5:6], v7, off
	v_mul_f16_sdwa v10, v55, v10 dst_sel:DWORD dst_unused:UNUSED_PAD src0_sel:WORD_1 src1_sel:DWORD
	v_and_or_b32 v0, v1, s15, v0
	v_cmp_ne_u32_e64 s[0:1], 0, v0
	v_cndmask_b32_e64 v0, 0, 1, s[0:1]
	v_lshrrev_b32_e32 v7, 8, v1
	v_bfe_u32 v12, v1, 20, 11
	v_and_or_b32 v0, v7, s10, v0
	v_sub_u32_e32 v13, 0x3f1, v12
	v_or_b32_e32 v7, 0x1000, v0
	v_med3_i32 v13, v13, 0, 13
	v_lshrrev_b32_e32 v15, v13, v7
	v_lshlrev_b32_e32 v13, v13, v15
	v_cmp_ne_u32_e64 s[0:1], v13, v7
	v_cndmask_b32_e64 v7, 0, 1, s[0:1]
	v_fma_f16 v10, v55, v14, -v10
	v_or_b32_e32 v7, v15, v7
	v_add_u32_e32 v15, 0xfffffc10, v12
	v_cvt_f32_f16_e32 v10, v10
	v_lshl_or_b32 v12, v15, 12, v0
	v_cmp_gt_i32_e64 s[0:1], 1, v15
	v_cndmask_b32_e64 v7, v12, v7, s[0:1]
	v_and_b32_e32 v12, 7, v7
	v_cmp_lt_i32_e64 s[0:1], 5, v12
	v_cmp_eq_u32_e64 s[2:3], 3, v12
	v_cvt_f64_f32_e32 v[12:13], v10
	v_lshrrev_b32_e32 v7, 2, v7
	s_or_b64 s[0:1], s[2:3], s[0:1]
	v_addc_co_u32_e64 v7, s[0:1], 0, v7, s[0:1]
	v_mul_f64 v[12:13], v[12:13], s[12:13]
	v_cmp_gt_i32_e64 s[0:1], 31, v15
	v_cndmask_b32_e64 v7, v2, v7, s[0:1]
	v_cmp_ne_u32_e64 s[0:1], 0, v0
	v_cndmask_b32_e64 v0, 0, 1, s[0:1]
	v_lshl_or_b32 v0, v0, 9, v2
	v_cmp_eq_u32_e64 s[0:1], s11, v15
	v_cndmask_b32_e64 v0, v7, v0, s[0:1]
	v_lshrrev_b32_e32 v1, 16, v1
	v_and_or_b32 v7, v1, s14, v0
	v_and_or_b32 v0, v13, s15, v12
	v_cmp_ne_u32_e64 s[0:1], 0, v0
	v_cndmask_b32_e64 v0, 0, 1, s[0:1]
	v_lshrrev_b32_e32 v1, 8, v13
	v_bfe_u32 v10, v13, 20, 11
	v_and_or_b32 v0, v1, s10, v0
	v_sub_u32_e32 v12, 0x3f1, v10
	v_or_b32_e32 v1, 0x1000, v0
	v_med3_i32 v12, v12, 0, 13
	v_lshrrev_b32_e32 v14, v12, v1
	v_lshlrev_b32_e32 v12, v12, v14
	v_cmp_ne_u32_e64 s[0:1], v12, v1
	v_cndmask_b32_e64 v1, 0, 1, s[0:1]
	v_add_u32_e32 v10, 0xfffffc10, v10
	v_or_b32_e32 v1, v14, v1
	v_lshl_or_b32 v12, v10, 12, v0
	v_cmp_gt_i32_e64 s[0:1], 1, v10
	v_cndmask_b32_e64 v1, v12, v1, s[0:1]
	v_and_b32_e32 v12, 7, v1
	v_cmp_lt_i32_e64 s[0:1], 5, v12
	v_cmp_eq_u32_e64 s[2:3], 3, v12
	v_lshrrev_b32_e32 v12, 16, v11
	v_lshrrev_b32_e32 v1, 2, v1
	s_or_b64 s[0:1], s[2:3], s[0:1]
	v_mul_f16_sdwa v14, v54, v12 dst_sel:DWORD dst_unused:UNUSED_PAD src0_sel:WORD_1 src1_sel:DWORD
	v_addc_co_u32_e64 v1, s[0:1], 0, v1, s[0:1]
	v_fma_f16 v14, v54, v11, v14
	v_cmp_gt_i32_e64 s[0:1], 31, v10
	v_cvt_f32_f16_e32 v14, v14
	v_cndmask_b32_e64 v1, v2, v1, s[0:1]
	v_cmp_ne_u32_e64 s[0:1], 0, v0
	v_cndmask_b32_e64 v0, 0, 1, s[0:1]
	v_lshl_or_b32 v0, v0, 9, v2
	v_cmp_eq_u32_e64 s[0:1], s11, v10
	v_cndmask_b32_e64 v10, v1, v0, s[0:1]
	v_cvt_f64_f32_e32 v[0:1], v14
	v_lshrrev_b32_e32 v13, 16, v13
	v_and_or_b32 v10, v13, s14, v10
	v_and_b32_e32 v7, 0xffff, v7
	v_mul_f64 v[0:1], v[0:1], s[12:13]
	v_lshl_or_b32 v7, v10, 16, v7
	v_mov_b32_e32 v10, s4
	v_add_co_u32_e64 v5, s[0:1], s5, v5
	v_addc_co_u32_e64 v6, s[0:1], v6, v10, s[0:1]
	global_store_dword v[5:6], v7, off
	v_and_or_b32 v0, v1, s15, v0
	v_cmp_ne_u32_e64 s[0:1], 0, v0
	v_cndmask_b32_e64 v0, 0, 1, s[0:1]
	v_lshrrev_b32_e32 v7, 8, v1
	v_bfe_u32 v10, v1, 20, 11
	v_and_or_b32 v0, v7, s10, v0
	v_sub_u32_e32 v13, 0x3f1, v10
	v_or_b32_e32 v7, 0x1000, v0
	v_med3_i32 v13, v13, 0, 13
	v_lshrrev_b32_e32 v14, v13, v7
	v_lshlrev_b32_e32 v13, v13, v14
	v_mul_f16_sdwa v11, v54, v11 dst_sel:DWORD dst_unused:UNUSED_PAD src0_sel:WORD_1 src1_sel:DWORD
	v_cmp_ne_u32_e64 s[0:1], v13, v7
	v_fma_f16 v11, v54, v12, -v11
	v_cndmask_b32_e64 v7, 0, 1, s[0:1]
	v_add_u32_e32 v13, 0xfffffc10, v10
	v_cvt_f32_f16_e32 v11, v11
	v_or_b32_e32 v7, v14, v7
	v_lshl_or_b32 v10, v13, 12, v0
	v_cmp_gt_i32_e64 s[0:1], 1, v13
	v_cndmask_b32_e64 v7, v10, v7, s[0:1]
	v_and_b32_e32 v10, 7, v7
	v_cmp_lt_i32_e64 s[0:1], 5, v10
	v_cmp_eq_u32_e64 s[2:3], 3, v10
	v_cvt_f64_f32_e32 v[10:11], v11
	v_lshrrev_b32_e32 v7, 2, v7
	s_or_b64 s[0:1], s[2:3], s[0:1]
	v_addc_co_u32_e64 v7, s[0:1], 0, v7, s[0:1]
	v_mul_f64 v[10:11], v[10:11], s[12:13]
	v_cmp_gt_i32_e64 s[0:1], 31, v13
	v_cndmask_b32_e64 v7, v2, v7, s[0:1]
	v_cmp_ne_u32_e64 s[0:1], 0, v0
	v_cndmask_b32_e64 v0, 0, 1, s[0:1]
	v_lshl_or_b32 v0, v0, 9, v2
	v_cmp_eq_u32_e64 s[0:1], s11, v13
	v_cndmask_b32_e64 v0, v7, v0, s[0:1]
	v_lshrrev_b32_e32 v1, 16, v1
	v_and_or_b32 v7, v1, s14, v0
	v_and_or_b32 v0, v11, s15, v10
	v_cmp_ne_u32_e64 s[0:1], 0, v0
	v_cndmask_b32_e64 v0, 0, 1, s[0:1]
	v_lshrrev_b32_e32 v1, 8, v11
	v_and_or_b32 v10, v1, s10, v0
	v_bfe_u32 v1, v11, 20, 11
	v_sub_u32_e32 v12, 0x3f1, v1
	v_or_b32_e32 v0, 0x1000, v10
	v_med3_i32 v12, v12, 0, 13
	v_lshrrev_b32_e32 v13, v12, v0
	v_lshlrev_b32_e32 v12, v12, v13
	v_cmp_ne_u32_e64 s[0:1], v12, v0
	v_cndmask_b32_e64 v0, 0, 1, s[0:1]
	v_add_u32_e32 v12, 0xfffffc10, v1
	v_or_b32_e32 v0, v13, v0
	v_lshl_or_b32 v1, v12, 12, v10
	v_cmp_gt_i32_e64 s[0:1], 1, v12
	v_cndmask_b32_e64 v0, v1, v0, s[0:1]
	v_and_b32_e32 v1, 7, v0
	v_cmp_lt_i32_e64 s[0:1], 5, v1
	v_cmp_eq_u32_e64 s[2:3], 3, v1
	v_lshrrev_b32_e32 v0, 2, v0
	s_or_b64 s[0:1], s[2:3], s[0:1]
	v_addc_co_u32_e64 v13, s[0:1], 0, v0, s[0:1]
	ds_read2_b32 v[0:1], v46 offset0:120 offset1:135
	v_cmp_gt_i32_e64 s[0:1], 31, v12
	v_cndmask_b32_e64 v13, v2, v13, s[0:1]
	v_cmp_ne_u32_e64 s[0:1], 0, v10
	v_cndmask_b32_e64 v10, 0, 1, s[0:1]
	s_waitcnt lgkmcnt(0)
	v_lshrrev_b32_e32 v14, 16, v0
	v_mul_f16_sdwa v15, v53, v14 dst_sel:DWORD dst_unused:UNUSED_PAD src0_sel:WORD_1 src1_sel:DWORD
	v_fma_f16 v15, v53, v0, v15
	v_cvt_f32_f16_e32 v15, v15
	v_lshl_or_b32 v10, v10, 9, v2
	v_cmp_eq_u32_e64 s[0:1], s11, v12
	v_cndmask_b32_e64 v10, v13, v10, s[0:1]
	v_cvt_f64_f32_e32 v[12:13], v15
	v_lshrrev_b32_e32 v11, 16, v11
	v_and_or_b32 v15, v11, s14, v10
	v_and_b32_e32 v7, 0xffff, v7
	v_mul_f64 v[10:11], v[12:13], s[12:13]
	v_mov_b32_e32 v12, s4
	v_add_co_u32_e64 v5, s[0:1], s5, v5
	v_lshl_or_b32 v7, v15, 16, v7
	v_addc_co_u32_e64 v6, s[0:1], v6, v12, s[0:1]
	global_store_dword v[5:6], v7, off
	v_and_or_b32 v7, v11, s15, v10
	v_cmp_ne_u32_e64 s[0:1], 0, v7
	v_cndmask_b32_e64 v7, 0, 1, s[0:1]
	v_lshrrev_b32_e32 v10, 8, v11
	v_bfe_u32 v12, v11, 20, 11
	v_and_or_b32 v7, v10, s10, v7
	v_sub_u32_e32 v13, 0x3f1, v12
	v_or_b32_e32 v10, 0x1000, v7
	v_med3_i32 v13, v13, 0, 13
	v_lshrrev_b32_e32 v15, v13, v10
	v_lshlrev_b32_e32 v13, v13, v15
	v_cmp_ne_u32_e64 s[0:1], v13, v10
	v_mul_f16_sdwa v0, v53, v0 dst_sel:DWORD dst_unused:UNUSED_PAD src0_sel:WORD_1 src1_sel:DWORD
	v_cndmask_b32_e64 v10, 0, 1, s[0:1]
	v_fma_f16 v0, v53, v14, -v0
	v_or_b32_e32 v10, v15, v10
	v_add_u32_e32 v15, 0xfffffc10, v12
	v_cvt_f32_f16_e32 v0, v0
	v_lshl_or_b32 v12, v15, 12, v7
	v_cmp_gt_i32_e64 s[0:1], 1, v15
	v_cndmask_b32_e64 v10, v12, v10, s[0:1]
	v_and_b32_e32 v12, 7, v10
	v_cmp_lt_i32_e64 s[0:1], 5, v12
	v_cmp_eq_u32_e64 s[2:3], 3, v12
	v_cvt_f64_f32_e32 v[12:13], v0
	v_lshrrev_b32_e32 v10, 2, v10
	s_or_b64 s[0:1], s[2:3], s[0:1]
	v_addc_co_u32_e64 v0, s[0:1], 0, v10, s[0:1]
	v_mul_f64 v[12:13], v[12:13], s[12:13]
	v_cmp_gt_i32_e64 s[0:1], 31, v15
	v_cndmask_b32_e64 v0, v2, v0, s[0:1]
	v_cmp_ne_u32_e64 s[0:1], 0, v7
	v_cndmask_b32_e64 v7, 0, 1, s[0:1]
	v_lshl_or_b32 v7, v7, 9, v2
	v_cmp_eq_u32_e64 s[0:1], s11, v15
	v_cndmask_b32_e64 v0, v0, v7, s[0:1]
	v_lshrrev_b32_e32 v7, 16, v11
	v_and_or_b32 v0, v7, s14, v0
	v_and_or_b32 v7, v13, s15, v12
	v_cmp_ne_u32_e64 s[0:1], 0, v7
	v_cndmask_b32_e64 v7, 0, 1, s[0:1]
	v_lshrrev_b32_e32 v10, 8, v13
	v_bfe_u32 v11, v13, 20, 11
	v_and_or_b32 v7, v10, s10, v7
	v_sub_u32_e32 v12, 0x3f1, v11
	v_or_b32_e32 v10, 0x1000, v7
	v_med3_i32 v12, v12, 0, 13
	v_lshrrev_b32_e32 v14, v12, v10
	v_lshlrev_b32_e32 v12, v12, v14
	v_cmp_ne_u32_e64 s[0:1], v12, v10
	v_cndmask_b32_e64 v10, 0, 1, s[0:1]
	v_add_u32_e32 v11, 0xfffffc10, v11
	v_or_b32_e32 v10, v14, v10
	v_lshl_or_b32 v12, v11, 12, v7
	v_cmp_gt_i32_e64 s[0:1], 1, v11
	v_cndmask_b32_e64 v10, v12, v10, s[0:1]
	v_and_b32_e32 v12, 7, v10
	v_cmp_lt_i32_e64 s[0:1], 5, v12
	v_cmp_eq_u32_e64 s[2:3], 3, v12
	v_lshrrev_b32_e32 v12, 16, v1
	v_lshrrev_b32_e32 v10, 2, v10
	s_or_b64 s[0:1], s[2:3], s[0:1]
	v_mul_f16_sdwa v14, v52, v12 dst_sel:DWORD dst_unused:UNUSED_PAD src0_sel:WORD_1 src1_sel:DWORD
	v_addc_co_u32_e64 v10, s[0:1], 0, v10, s[0:1]
	v_fma_f16 v14, v52, v1, v14
	v_cmp_gt_i32_e64 s[0:1], 31, v11
	v_cvt_f32_f16_e32 v14, v14
	v_cndmask_b32_e64 v10, v2, v10, s[0:1]
	v_cmp_ne_u32_e64 s[0:1], 0, v7
	v_cndmask_b32_e64 v7, 0, 1, s[0:1]
	v_lshl_or_b32 v7, v7, 9, v2
	v_cmp_eq_u32_e64 s[0:1], s11, v11
	v_cndmask_b32_e64 v7, v10, v7, s[0:1]
	v_cvt_f64_f32_e32 v[10:11], v14
	v_lshrrev_b32_e32 v13, 16, v13
	v_and_or_b32 v7, v13, s14, v7
	v_and_b32_e32 v0, 0xffff, v0
	v_mul_f64 v[10:11], v[10:11], s[12:13]
	v_lshl_or_b32 v0, v7, 16, v0
	v_mov_b32_e32 v7, s4
	v_add_co_u32_e64 v5, s[0:1], s5, v5
	v_addc_co_u32_e64 v6, s[0:1], v6, v7, s[0:1]
	global_store_dword v[5:6], v0, off
	v_and_or_b32 v0, v11, s15, v10
	v_cmp_ne_u32_e64 s[0:1], 0, v0
	v_cndmask_b32_e64 v0, 0, 1, s[0:1]
	v_lshrrev_b32_e32 v7, 8, v11
	v_bfe_u32 v10, v11, 20, 11
	v_and_or_b32 v7, v7, s10, v0
	v_sub_u32_e32 v13, 0x3f1, v10
	v_or_b32_e32 v0, 0x1000, v7
	v_med3_i32 v13, v13, 0, 13
	v_lshrrev_b32_e32 v14, v13, v0
	v_mul_f16_sdwa v1, v52, v1 dst_sel:DWORD dst_unused:UNUSED_PAD src0_sel:WORD_1 src1_sel:DWORD
	v_lshlrev_b32_e32 v13, v13, v14
	v_fma_f16 v1, v52, v12, -v1
	v_cmp_ne_u32_e64 s[0:1], v13, v0
	v_cvt_f32_f16_e32 v1, v1
	v_cndmask_b32_e64 v0, 0, 1, s[0:1]
	v_add_u32_e32 v10, 0xfffffc10, v10
	v_or_b32_e32 v0, v14, v0
	v_lshl_or_b32 v13, v10, 12, v7
	v_cmp_gt_i32_e64 s[0:1], 1, v10
	v_cndmask_b32_e64 v0, v13, v0, s[0:1]
	v_and_b32_e32 v13, 7, v0
	v_lshrrev_b32_e32 v12, 2, v0
	v_cvt_f64_f32_e32 v[0:1], v1
	v_cmp_lt_i32_e64 s[0:1], 5, v13
	v_cmp_eq_u32_e64 s[2:3], 3, v13
	s_or_b64 s[0:1], s[2:3], s[0:1]
	v_mul_f64 v[0:1], v[0:1], s[12:13]
	v_addc_co_u32_e64 v12, s[0:1], 0, v12, s[0:1]
	v_cmp_gt_i32_e64 s[0:1], 31, v10
	v_cndmask_b32_e64 v12, v2, v12, s[0:1]
	v_cmp_ne_u32_e64 s[0:1], 0, v7
	v_cndmask_b32_e64 v7, 0, 1, s[0:1]
	v_lshl_or_b32 v7, v7, 9, v2
	v_cmp_eq_u32_e64 s[0:1], s11, v10
	v_and_or_b32 v0, v1, s15, v0
	v_cndmask_b32_e64 v7, v12, v7, s[0:1]
	v_lshrrev_b32_e32 v10, 16, v11
	v_cmp_ne_u32_e64 s[0:1], 0, v0
	v_and_or_b32 v7, v10, s14, v7
	v_cndmask_b32_e64 v0, 0, 1, s[0:1]
	v_lshrrev_b32_e32 v10, 8, v1
	v_bfe_u32 v11, v1, 20, 11
	v_and_or_b32 v0, v10, s10, v0
	v_sub_u32_e32 v12, 0x3f1, v11
	v_or_b32_e32 v10, 0x1000, v0
	v_med3_i32 v12, v12, 0, 13
	v_lshrrev_b32_e32 v13, v12, v10
	v_lshlrev_b32_e32 v12, v12, v13
	v_cmp_ne_u32_e64 s[0:1], v12, v10
	v_cndmask_b32_e64 v10, 0, 1, s[0:1]
	v_add_u32_e32 v12, 0xfffffc10, v11
	v_or_b32_e32 v10, v13, v10
	v_lshl_or_b32 v11, v12, 12, v0
	v_cmp_gt_i32_e64 s[0:1], 1, v12
	v_cndmask_b32_e64 v10, v11, v10, s[0:1]
	v_and_b32_e32 v11, 7, v10
	v_cmp_lt_i32_e64 s[0:1], 5, v11
	v_cmp_eq_u32_e64 s[2:3], 3, v11
	v_lshrrev_b32_e32 v10, 2, v10
	s_or_b64 s[0:1], s[2:3], s[0:1]
	v_addc_co_u32_e64 v13, s[0:1], 0, v10, s[0:1]
	ds_read2_b32 v[10:11], v46 offset0:150 offset1:165
	v_cmp_gt_i32_e64 s[0:1], 31, v12
	v_cndmask_b32_e64 v13, v2, v13, s[0:1]
	v_cmp_ne_u32_e64 s[0:1], 0, v0
	v_cndmask_b32_e64 v0, 0, 1, s[0:1]
	s_waitcnt lgkmcnt(0)
	v_lshrrev_b32_e32 v14, 16, v10
	v_mul_f16_sdwa v15, v51, v14 dst_sel:DWORD dst_unused:UNUSED_PAD src0_sel:WORD_1 src1_sel:DWORD
	v_fma_f16 v15, v51, v10, v15
	v_cvt_f32_f16_e32 v15, v15
	v_lshl_or_b32 v0, v0, 9, v2
	v_cmp_eq_u32_e64 s[0:1], s11, v12
	v_cndmask_b32_e64 v0, v13, v0, s[0:1]
	v_cvt_f64_f32_e32 v[12:13], v15
	v_lshrrev_b32_e32 v1, 16, v1
	v_and_or_b32 v15, v1, s14, v0
	v_add_co_u32_e64 v5, s[0:1], s5, v5
	v_mul_f64 v[0:1], v[12:13], s[12:13]
	v_mov_b32_e32 v12, s4
	v_and_b32_e32 v7, 0xffff, v7
	v_addc_co_u32_e64 v6, s[0:1], v6, v12, s[0:1]
	v_lshl_or_b32 v7, v15, 16, v7
	global_store_dword v[5:6], v7, off
	v_mul_f16_sdwa v10, v51, v10 dst_sel:DWORD dst_unused:UNUSED_PAD src0_sel:WORD_1 src1_sel:DWORD
	v_and_or_b32 v0, v1, s15, v0
	v_cmp_ne_u32_e64 s[0:1], 0, v0
	v_cndmask_b32_e64 v0, 0, 1, s[0:1]
	v_lshrrev_b32_e32 v7, 8, v1
	v_bfe_u32 v12, v1, 20, 11
	v_and_or_b32 v0, v7, s10, v0
	v_sub_u32_e32 v13, 0x3f1, v12
	v_or_b32_e32 v7, 0x1000, v0
	v_med3_i32 v13, v13, 0, 13
	v_lshrrev_b32_e32 v15, v13, v7
	v_lshlrev_b32_e32 v13, v13, v15
	v_cmp_ne_u32_e64 s[0:1], v13, v7
	v_cndmask_b32_e64 v7, 0, 1, s[0:1]
	v_fma_f16 v10, v51, v14, -v10
	v_or_b32_e32 v7, v15, v7
	v_add_u32_e32 v15, 0xfffffc10, v12
	v_cvt_f32_f16_e32 v10, v10
	v_lshl_or_b32 v12, v15, 12, v0
	v_cmp_gt_i32_e64 s[0:1], 1, v15
	v_cndmask_b32_e64 v7, v12, v7, s[0:1]
	v_and_b32_e32 v12, 7, v7
	v_cmp_lt_i32_e64 s[0:1], 5, v12
	v_cmp_eq_u32_e64 s[2:3], 3, v12
	v_cvt_f64_f32_e32 v[12:13], v10
	v_lshrrev_b32_e32 v7, 2, v7
	s_or_b64 s[0:1], s[2:3], s[0:1]
	v_addc_co_u32_e64 v7, s[0:1], 0, v7, s[0:1]
	v_mul_f64 v[12:13], v[12:13], s[12:13]
	v_cmp_gt_i32_e64 s[0:1], 31, v15
	v_cndmask_b32_e64 v7, v2, v7, s[0:1]
	v_cmp_ne_u32_e64 s[0:1], 0, v0
	v_cndmask_b32_e64 v0, 0, 1, s[0:1]
	v_lshl_or_b32 v0, v0, 9, v2
	v_cmp_eq_u32_e64 s[0:1], s11, v15
	v_cndmask_b32_e64 v0, v7, v0, s[0:1]
	v_lshrrev_b32_e32 v1, 16, v1
	v_and_or_b32 v7, v1, s14, v0
	v_and_or_b32 v0, v13, s15, v12
	v_cmp_ne_u32_e64 s[0:1], 0, v0
	v_cndmask_b32_e64 v0, 0, 1, s[0:1]
	v_lshrrev_b32_e32 v1, 8, v13
	v_bfe_u32 v10, v13, 20, 11
	v_and_or_b32 v0, v1, s10, v0
	v_sub_u32_e32 v12, 0x3f1, v10
	v_or_b32_e32 v1, 0x1000, v0
	v_med3_i32 v12, v12, 0, 13
	v_lshrrev_b32_e32 v14, v12, v1
	v_lshlrev_b32_e32 v12, v12, v14
	v_cmp_ne_u32_e64 s[0:1], v12, v1
	v_cndmask_b32_e64 v1, 0, 1, s[0:1]
	v_add_u32_e32 v10, 0xfffffc10, v10
	v_or_b32_e32 v1, v14, v1
	v_lshl_or_b32 v12, v10, 12, v0
	v_cmp_gt_i32_e64 s[0:1], 1, v10
	v_cndmask_b32_e64 v1, v12, v1, s[0:1]
	v_and_b32_e32 v12, 7, v1
	v_cmp_lt_i32_e64 s[0:1], 5, v12
	v_cmp_eq_u32_e64 s[2:3], 3, v12
	v_lshrrev_b32_e32 v12, 16, v11
	v_lshrrev_b32_e32 v1, 2, v1
	s_or_b64 s[0:1], s[2:3], s[0:1]
	v_mul_f16_sdwa v14, v50, v12 dst_sel:DWORD dst_unused:UNUSED_PAD src0_sel:WORD_1 src1_sel:DWORD
	v_addc_co_u32_e64 v1, s[0:1], 0, v1, s[0:1]
	v_fma_f16 v14, v50, v11, v14
	v_cmp_gt_i32_e64 s[0:1], 31, v10
	v_cvt_f32_f16_e32 v14, v14
	v_cndmask_b32_e64 v1, v2, v1, s[0:1]
	v_cmp_ne_u32_e64 s[0:1], 0, v0
	v_cndmask_b32_e64 v0, 0, 1, s[0:1]
	v_lshl_or_b32 v0, v0, 9, v2
	v_cmp_eq_u32_e64 s[0:1], s11, v10
	v_cndmask_b32_e64 v10, v1, v0, s[0:1]
	v_cvt_f64_f32_e32 v[0:1], v14
	v_lshrrev_b32_e32 v13, 16, v13
	v_and_or_b32 v10, v13, s14, v10
	v_and_b32_e32 v7, 0xffff, v7
	v_mul_f64 v[0:1], v[0:1], s[12:13]
	v_lshl_or_b32 v7, v10, 16, v7
	v_mov_b32_e32 v10, s4
	v_add_co_u32_e64 v5, s[0:1], s5, v5
	v_addc_co_u32_e64 v6, s[0:1], v6, v10, s[0:1]
	global_store_dword v[5:6], v7, off
	v_and_or_b32 v0, v1, s15, v0
	v_cmp_ne_u32_e64 s[0:1], 0, v0
	v_cndmask_b32_e64 v0, 0, 1, s[0:1]
	v_lshrrev_b32_e32 v7, 8, v1
	v_bfe_u32 v10, v1, 20, 11
	v_and_or_b32 v0, v7, s10, v0
	v_sub_u32_e32 v13, 0x3f1, v10
	v_or_b32_e32 v7, 0x1000, v0
	v_med3_i32 v13, v13, 0, 13
	v_lshrrev_b32_e32 v14, v13, v7
	v_lshlrev_b32_e32 v13, v13, v14
	v_mul_f16_sdwa v11, v50, v11 dst_sel:DWORD dst_unused:UNUSED_PAD src0_sel:WORD_1 src1_sel:DWORD
	v_cmp_ne_u32_e64 s[0:1], v13, v7
	v_fma_f16 v11, v50, v12, -v11
	v_cndmask_b32_e64 v7, 0, 1, s[0:1]
	v_add_u32_e32 v13, 0xfffffc10, v10
	v_cvt_f32_f16_e32 v11, v11
	v_or_b32_e32 v7, v14, v7
	v_lshl_or_b32 v10, v13, 12, v0
	v_cmp_gt_i32_e64 s[0:1], 1, v13
	v_cndmask_b32_e64 v7, v10, v7, s[0:1]
	v_and_b32_e32 v10, 7, v7
	v_cmp_lt_i32_e64 s[0:1], 5, v10
	v_cmp_eq_u32_e64 s[2:3], 3, v10
	v_cvt_f64_f32_e32 v[10:11], v11
	v_lshrrev_b32_e32 v7, 2, v7
	s_or_b64 s[0:1], s[2:3], s[0:1]
	v_addc_co_u32_e64 v7, s[0:1], 0, v7, s[0:1]
	v_mul_f64 v[10:11], v[10:11], s[12:13]
	v_cmp_gt_i32_e64 s[0:1], 31, v13
	v_cndmask_b32_e64 v7, v2, v7, s[0:1]
	v_cmp_ne_u32_e64 s[0:1], 0, v0
	v_cndmask_b32_e64 v0, 0, 1, s[0:1]
	v_lshl_or_b32 v0, v0, 9, v2
	v_cmp_eq_u32_e64 s[0:1], s11, v13
	v_cndmask_b32_e64 v0, v7, v0, s[0:1]
	v_lshrrev_b32_e32 v1, 16, v1
	v_and_or_b32 v7, v1, s14, v0
	v_and_or_b32 v0, v11, s15, v10
	v_cmp_ne_u32_e64 s[0:1], 0, v0
	v_cndmask_b32_e64 v0, 0, 1, s[0:1]
	v_lshrrev_b32_e32 v1, 8, v11
	v_bfe_u32 v10, v11, 20, 11
	v_and_or_b32 v0, v1, s10, v0
	v_sub_u32_e32 v12, 0x3f1, v10
	v_or_b32_e32 v1, 0x1000, v0
	v_med3_i32 v12, v12, 0, 13
	v_lshrrev_b32_e32 v13, v12, v1
	v_lshlrev_b32_e32 v12, v12, v13
	v_cmp_ne_u32_e64 s[0:1], v12, v1
	v_cndmask_b32_e64 v1, 0, 1, s[0:1]
	v_add_u32_e32 v10, 0xfffffc10, v10
	v_or_b32_e32 v1, v13, v1
	v_lshl_or_b32 v12, v10, 12, v0
	v_cmp_gt_i32_e64 s[0:1], 1, v10
	v_cndmask_b32_e64 v1, v12, v1, s[0:1]
	v_and_b32_e32 v12, 7, v1
	v_cmp_lt_i32_e64 s[0:1], 5, v12
	v_cmp_eq_u32_e64 s[2:3], 3, v12
	ds_read_b32 v12, v46 offset:720
	v_lshrrev_b32_e32 v1, 2, v1
	s_or_b64 s[0:1], s[2:3], s[0:1]
	v_addc_co_u32_e64 v1, s[0:1], 0, v1, s[0:1]
	s_waitcnt lgkmcnt(0)
	v_lshrrev_b32_e32 v13, 16, v12
	v_mul_f16_sdwa v14, v49, v13 dst_sel:DWORD dst_unused:UNUSED_PAD src0_sel:WORD_1 src1_sel:DWORD
	v_fma_f16 v14, v49, v12, v14
	v_cmp_gt_i32_e64 s[0:1], 31, v10
	v_cvt_f32_f16_e32 v14, v14
	v_cndmask_b32_e64 v1, v2, v1, s[0:1]
	v_cmp_ne_u32_e64 s[0:1], 0, v0
	v_cndmask_b32_e64 v0, 0, 1, s[0:1]
	v_lshl_or_b32 v0, v0, 9, v2
	v_cmp_eq_u32_e64 s[0:1], s11, v10
	v_cndmask_b32_e64 v10, v1, v0, s[0:1]
	v_cvt_f64_f32_e32 v[0:1], v14
	v_lshrrev_b32_e32 v11, 16, v11
	v_and_or_b32 v10, v11, s14, v10
	v_and_b32_e32 v7, 0xffff, v7
	v_mul_f64 v[0:1], v[0:1], s[12:13]
	v_lshl_or_b32 v7, v10, 16, v7
	v_mov_b32_e32 v10, s4
	v_add_co_u32_e64 v5, s[0:1], s5, v5
	v_addc_co_u32_e64 v6, s[0:1], v6, v10, s[0:1]
	global_store_dword v[5:6], v7, off
	v_and_or_b32 v0, v1, s15, v0
	v_cmp_ne_u32_e64 s[0:1], 0, v0
	v_cndmask_b32_e64 v0, 0, 1, s[0:1]
	v_lshrrev_b32_e32 v7, 8, v1
	v_bfe_u32 v10, v1, 20, 11
	v_and_or_b32 v0, v7, s10, v0
	v_sub_u32_e32 v11, 0x3f1, v10
	v_or_b32_e32 v7, 0x1000, v0
	v_med3_i32 v11, v11, 0, 13
	v_lshrrev_b32_e32 v14, v11, v7
	v_lshlrev_b32_e32 v11, v11, v14
	v_cmp_ne_u32_e64 s[0:1], v11, v7
	v_mul_f16_sdwa v11, v49, v12 dst_sel:DWORD dst_unused:UNUSED_PAD src0_sel:WORD_1 src1_sel:DWORD
	v_cndmask_b32_e64 v7, 0, 1, s[0:1]
	v_fma_f16 v11, v49, v13, -v11
	v_or_b32_e32 v7, v14, v7
	v_add_u32_e32 v14, 0xfffffc10, v10
	v_cvt_f32_f16_e32 v11, v11
	v_lshl_or_b32 v10, v14, 12, v0
	v_cmp_gt_i32_e64 s[0:1], 1, v14
	v_cndmask_b32_e64 v7, v10, v7, s[0:1]
	v_and_b32_e32 v10, 7, v7
	v_cmp_lt_i32_e64 s[0:1], 5, v10
	v_cmp_eq_u32_e64 s[2:3], 3, v10
	v_cvt_f64_f32_e32 v[10:11], v11
	v_lshrrev_b32_e32 v7, 2, v7
	s_or_b64 s[0:1], s[2:3], s[0:1]
	v_addc_co_u32_e64 v7, s[0:1], 0, v7, s[0:1]
	v_mul_f64 v[10:11], v[10:11], s[12:13]
	v_cmp_gt_i32_e64 s[0:1], 31, v14
	v_cndmask_b32_e64 v7, v2, v7, s[0:1]
	v_cmp_ne_u32_e64 s[0:1], 0, v0
	v_cndmask_b32_e64 v0, 0, 1, s[0:1]
	v_lshl_or_b32 v0, v0, 9, v2
	v_cmp_eq_u32_e64 s[0:1], s11, v14
	v_cndmask_b32_e64 v0, v7, v0, s[0:1]
	v_lshrrev_b32_e32 v1, 16, v1
	v_and_or_b32 v0, v1, s14, v0
	v_and_or_b32 v1, v11, s15, v10
	v_cmp_ne_u32_e64 s[0:1], 0, v1
	v_cndmask_b32_e64 v1, 0, 1, s[0:1]
	v_lshrrev_b32_e32 v7, 8, v11
	v_bfe_u32 v10, v11, 20, 11
	v_and_or_b32 v1, v7, s10, v1
	v_sub_u32_e32 v12, 0x3f1, v10
	v_or_b32_e32 v7, 0x1000, v1
	v_med3_i32 v12, v12, 0, 13
	v_lshrrev_b32_e32 v13, v12, v7
	v_lshlrev_b32_e32 v12, v12, v13
	v_cmp_ne_u32_e64 s[0:1], v12, v7
	v_cndmask_b32_e64 v7, 0, 1, s[0:1]
	v_add_u32_e32 v10, 0xfffffc10, v10
	v_or_b32_e32 v7, v13, v7
	v_lshl_or_b32 v12, v10, 12, v1
	v_cmp_gt_i32_e64 s[0:1], 1, v10
	v_cndmask_b32_e64 v7, v12, v7, s[0:1]
	v_and_b32_e32 v12, 7, v7
	v_cmp_lt_i32_e64 s[0:1], 5, v12
	v_cmp_eq_u32_e64 s[2:3], 3, v12
	v_lshrrev_b32_e32 v7, 2, v7
	s_or_b64 s[0:1], s[2:3], s[0:1]
	v_addc_co_u32_e64 v7, s[0:1], 0, v7, s[0:1]
	v_cmp_gt_i32_e64 s[0:1], 31, v10
	v_cndmask_b32_e64 v7, v2, v7, s[0:1]
	v_cmp_ne_u32_e64 s[0:1], 0, v1
	v_cndmask_b32_e64 v1, 0, 1, s[0:1]
	v_lshl_or_b32 v1, v1, 9, v2
	v_cmp_eq_u32_e64 s[0:1], s11, v10
	v_cndmask_b32_e64 v1, v7, v1, s[0:1]
	v_lshrrev_b32_e32 v7, 16, v11
	v_and_or_b32 v1, v7, s14, v1
	v_and_b32_e32 v0, 0xffff, v0
	v_lshl_or_b32 v7, v1, 16, v0
	v_mov_b32_e32 v1, s4
	v_add_co_u32_e64 v0, s[0:1], s5, v5
	v_addc_co_u32_e64 v1, s[0:1], v6, v1, s[0:1]
	global_store_dword v[0:1], v7, off
	s_and_b64 exec, exec, vcc
	s_cbranch_execz .LBB0_15
; %bb.14:
	global_load_dword v5, v[8:9], off offset:52
	ds_read_b32 v6, v63 offset:52
	s_mul_hi_u32 s7, s8, 0x78
	s_mul_i32 s6, s8, 0x78
	s_waitcnt lgkmcnt(0)
	v_lshrrev_b32_e32 v7, 16, v6
	s_waitcnt vmcnt(0)
	v_mul_f16_sdwa v10, v7, v5 dst_sel:DWORD dst_unused:UNUSED_PAD src0_sel:DWORD src1_sel:WORD_1
	v_fma_f16 v10, v6, v5, v10
	v_mul_f16_sdwa v6, v6, v5 dst_sel:DWORD dst_unused:UNUSED_PAD src0_sel:DWORD src1_sel:WORD_1
	v_cvt_f32_f16_e32 v10, v10
	v_fma_f16 v5, v5, v7, -v6
	v_cvt_f32_f16_e32 v7, v5
	v_cvt_f64_f32_e32 v[5:6], v10
	v_cvt_f64_f32_e32 v[10:11], v7
	v_mov_b32_e32 v7, 0xfffffd64
	v_mul_f64 v[5:6], v[5:6], s[12:13]
	v_mad_u64_u32 v[0:1], s[0:1], s8, v7, v[0:1]
	v_mul_f64 v[10:11], v[10:11], s[12:13]
	s_mul_i32 s0, s9, 0xfffffd64
	s_sub_i32 s0, s0, s8
	v_add_u32_e32 v1, s0, v1
	v_and_or_b32 v5, v6, s15, v5
	v_cmp_ne_u32_e32 vcc, 0, v5
	v_lshrrev_b32_e32 v7, 8, v6
	v_and_or_b32 v10, v11, s15, v10
	v_bfe_u32 v12, v6, 20, 11
	v_cndmask_b32_e64 v5, 0, 1, vcc
	v_cmp_ne_u32_e32 vcc, 0, v10
	v_lshrrev_b32_e32 v13, 8, v11
	v_bfe_u32 v14, v11, 20, 11
	v_sub_u32_e32 v15, 0x3f1, v12
	v_cndmask_b32_e64 v10, 0, 1, vcc
	v_and_or_b32 v5, v7, s10, v5
	v_sub_u32_e32 v16, 0x3f1, v14
	v_med3_i32 v7, v15, 0, 13
	v_and_or_b32 v10, v13, s10, v10
	v_or_b32_e32 v15, 0x1000, v5
	v_add_u32_e32 v12, 0xfffffc10, v12
	v_med3_i32 v13, v16, 0, 13
	v_cmp_ne_u32_e32 vcc, 0, v5
	v_or_b32_e32 v17, 0x1000, v10
	v_lshrrev_b32_e32 v19, v7, v15
	v_add_u32_e32 v14, 0xfffffc10, v14
	v_lshl_or_b32 v16, v12, 12, v5
	v_cndmask_b32_e64 v5, 0, 1, vcc
	v_cmp_ne_u32_e32 vcc, 0, v10
	v_lshrrev_b32_e32 v20, v13, v17
	v_lshlrev_b32_e32 v7, v7, v19
	v_lshl_or_b32 v18, v14, 12, v10
	v_cndmask_b32_e64 v10, 0, 1, vcc
	v_lshlrev_b32_e32 v13, v13, v20
	v_cmp_ne_u32_e32 vcc, v7, v15
	v_cndmask_b32_e64 v7, 0, 1, vcc
	v_cmp_ne_u32_e32 vcc, v13, v17
	v_cndmask_b32_e64 v13, 0, 1, vcc
	v_or_b32_e32 v7, v19, v7
	v_cmp_gt_i32_e32 vcc, 1, v12
	v_cndmask_b32_e32 v7, v16, v7, vcc
	v_or_b32_e32 v13, v20, v13
	v_cmp_gt_i32_e32 vcc, 1, v14
	v_and_b32_e32 v15, 7, v7
	v_cndmask_b32_e32 v13, v18, v13, vcc
	v_cmp_lt_i32_e32 vcc, 5, v15
	v_cmp_eq_u32_e64 s[0:1], 3, v15
	v_lshrrev_b32_e32 v7, 2, v7
	v_and_b32_e32 v16, 7, v13
	s_or_b64 vcc, s[0:1], vcc
	v_cmp_lt_i32_e64 s[2:3], 5, v16
	v_cmp_eq_u32_e64 s[4:5], 3, v16
	v_addc_co_u32_e32 v7, vcc, 0, v7, vcc
	v_lshrrev_b32_e32 v13, 2, v13
	s_or_b64 vcc, s[4:5], s[2:3]
	v_addc_co_u32_e32 v13, vcc, 0, v13, vcc
	v_cmp_gt_i32_e32 vcc, 31, v12
	v_cndmask_b32_e32 v7, v2, v7, vcc
	v_cmp_gt_i32_e32 vcc, 31, v14
	v_lshl_or_b32 v5, v5, 9, v2
	v_cndmask_b32_e32 v13, v2, v13, vcc
	v_cmp_eq_u32_e32 vcc, s11, v12
	v_lshrrev_b32_e32 v6, 16, v6
	v_lshl_or_b32 v10, v10, 9, v2
	v_cndmask_b32_e32 v5, v7, v5, vcc
	v_cmp_eq_u32_e32 vcc, s11, v14
	v_lshrrev_b32_e32 v11, 16, v11
	v_cndmask_b32_e32 v7, v13, v10, vcc
	v_and_or_b32 v5, v6, s14, v5
	v_and_or_b32 v6, v11, s14, v7
	v_and_b32_e32 v5, 0xffff, v5
	v_lshl_or_b32 v5, v6, 16, v5
	global_store_dword v[0:1], v5, off
	global_load_dword v12, v[8:9], off offset:112
	ds_read2_b32 v[5:6], v46 offset0:28 offset1:43
	v_mad_u64_u32 v[10:11], s[0:1], s8, v48, 0
	v_mov_b32_e32 v7, v11
	s_waitcnt lgkmcnt(0)
	v_lshrrev_b32_e32 v11, 16, v5
	s_waitcnt vmcnt(0)
	v_mul_f16_sdwa v13, v11, v12 dst_sel:DWORD dst_unused:UNUSED_PAD src0_sel:DWORD src1_sel:WORD_1
	v_fma_f16 v13, v5, v12, v13
	v_mul_f16_sdwa v5, v5, v12 dst_sel:DWORD dst_unused:UNUSED_PAD src0_sel:DWORD src1_sel:WORD_1
	v_cvt_f32_f16_e32 v13, v13
	v_fma_f16 v5, v12, v11, -v5
	v_cvt_f32_f16_e32 v5, v5
	v_cvt_f64_f32_e32 v[11:12], v13
	v_mad_u64_u32 v[13:14], s[0:1], s9, v48, v[7:8]
	v_cvt_f64_f32_e32 v[14:15], v5
	v_mul_f64 v[16:17], v[11:12], s[12:13]
	v_mov_b32_e32 v11, v13
	v_lshlrev_b64 v[10:11], 2, v[10:11]
	v_mul_f64 v[12:13], v[14:15], s[12:13]
	v_add_co_u32_e32 v10, vcc, v3, v10
	v_addc_co_u32_e32 v11, vcc, v4, v11, vcc
	v_and_or_b32 v5, v17, s15, v16
	v_cmp_ne_u32_e32 vcc, 0, v5
	v_lshrrev_b32_e32 v7, 8, v17
	v_and_or_b32 v12, v13, s15, v12
	v_bfe_u32 v14, v17, 20, 11
	v_cndmask_b32_e64 v5, 0, 1, vcc
	v_cmp_ne_u32_e32 vcc, 0, v12
	v_lshrrev_b32_e32 v15, 16, v17
	v_lshrrev_b32_e32 v16, 8, v13
	v_bfe_u32 v17, v13, 20, 11
	v_sub_u32_e32 v18, 0x3f1, v14
	v_cndmask_b32_e64 v12, 0, 1, vcc
	v_and_or_b32 v5, v7, s10, v5
	v_sub_u32_e32 v19, 0x3f1, v17
	v_med3_i32 v7, v18, 0, 13
	v_and_or_b32 v12, v16, s10, v12
	v_or_b32_e32 v18, 0x1000, v5
	v_add_u32_e32 v14, 0xfffffc10, v14
	v_med3_i32 v16, v19, 0, 13
	v_cmp_ne_u32_e32 vcc, 0, v5
	v_or_b32_e32 v20, 0x1000, v12
	v_lshrrev_b32_e32 v22, v7, v18
	v_add_u32_e32 v17, 0xfffffc10, v17
	v_lshl_or_b32 v19, v14, 12, v5
	v_cndmask_b32_e64 v5, 0, 1, vcc
	v_cmp_ne_u32_e32 vcc, 0, v12
	v_lshrrev_b32_e32 v23, v16, v20
	v_lshlrev_b32_e32 v7, v7, v22
	v_lshl_or_b32 v21, v17, 12, v12
	v_cndmask_b32_e64 v12, 0, 1, vcc
	v_lshlrev_b32_e32 v16, v16, v23
	v_cmp_ne_u32_e32 vcc, v7, v18
	v_cndmask_b32_e64 v7, 0, 1, vcc
	v_cmp_ne_u32_e32 vcc, v16, v20
	v_cndmask_b32_e64 v16, 0, 1, vcc
	v_or_b32_e32 v7, v22, v7
	v_cmp_gt_i32_e32 vcc, 1, v14
	v_cndmask_b32_e32 v7, v19, v7, vcc
	v_or_b32_e32 v16, v23, v16
	v_cmp_gt_i32_e32 vcc, 1, v17
	v_and_b32_e32 v18, 7, v7
	v_cndmask_b32_e32 v16, v21, v16, vcc
	v_cmp_lt_i32_e32 vcc, 5, v18
	v_cmp_eq_u32_e64 s[0:1], 3, v18
	v_lshrrev_b32_e32 v7, 2, v7
	v_and_b32_e32 v19, 7, v16
	s_or_b64 vcc, s[0:1], vcc
	v_cmp_lt_i32_e64 s[2:3], 5, v19
	v_cmp_eq_u32_e64 s[4:5], 3, v19
	v_addc_co_u32_e32 v7, vcc, 0, v7, vcc
	v_lshrrev_b32_e32 v16, 2, v16
	s_or_b64 vcc, s[4:5], s[2:3]
	v_addc_co_u32_e32 v16, vcc, 0, v16, vcc
	v_cmp_gt_i32_e32 vcc, 31, v14
	v_cndmask_b32_e32 v7, v2, v7, vcc
	v_cmp_gt_i32_e32 vcc, 31, v17
	v_lshl_or_b32 v5, v5, 9, v2
	v_cndmask_b32_e32 v16, v2, v16, vcc
	v_cmp_eq_u32_e32 vcc, s11, v14
	v_lshl_or_b32 v12, v12, 9, v2
	v_cndmask_b32_e32 v5, v7, v5, vcc
	v_cmp_eq_u32_e32 vcc, s11, v17
	v_lshrrev_b32_e32 v13, 16, v13
	v_cndmask_b32_e32 v7, v16, v12, vcc
	v_and_or_b32 v5, v15, s14, v5
	v_and_or_b32 v7, v13, s14, v7
	v_and_b32_e32 v5, 0xffff, v5
	v_lshl_or_b32 v5, v7, 16, v5
	global_store_dword v[10:11], v5, off
	global_load_dword v5, v[8:9], off offset:172
	v_lshrrev_b32_e32 v7, 16, v6
	s_mul_i32 s0, s9, 0x78
	s_add_i32 s7, s7, s0
	v_add_co_u32_e32 v0, vcc, s6, v0
	s_waitcnt vmcnt(0)
	v_mul_f16_sdwa v10, v7, v5 dst_sel:DWORD dst_unused:UNUSED_PAD src0_sel:DWORD src1_sel:WORD_1
	v_fma_f16 v10, v6, v5, v10
	v_mul_f16_sdwa v6, v6, v5 dst_sel:DWORD dst_unused:UNUSED_PAD src0_sel:DWORD src1_sel:WORD_1
	v_cvt_f32_f16_e32 v10, v10
	v_fma_f16 v5, v5, v7, -v6
	v_cvt_f32_f16_e32 v7, v5
	v_cvt_f64_f32_e32 v[5:6], v10
	v_cvt_f64_f32_e32 v[10:11], v7
	v_mov_b32_e32 v7, s7
	v_mul_f64 v[5:6], v[5:6], s[12:13]
	v_addc_co_u32_e32 v1, vcc, v1, v7, vcc
	v_mul_f64 v[10:11], v[10:11], s[12:13]
	v_and_or_b32 v5, v6, s15, v5
	v_cmp_ne_u32_e32 vcc, 0, v5
	v_lshrrev_b32_e32 v7, 8, v6
	v_and_or_b32 v10, v11, s15, v10
	v_bfe_u32 v12, v6, 20, 11
	v_cndmask_b32_e64 v5, 0, 1, vcc
	v_cmp_ne_u32_e32 vcc, 0, v10
	v_lshrrev_b32_e32 v13, 8, v11
	v_bfe_u32 v14, v11, 20, 11
	v_sub_u32_e32 v15, 0x3f1, v12
	v_cndmask_b32_e64 v10, 0, 1, vcc
	v_and_or_b32 v5, v7, s10, v5
	v_sub_u32_e32 v16, 0x3f1, v14
	v_med3_i32 v7, v15, 0, 13
	v_and_or_b32 v10, v13, s10, v10
	v_or_b32_e32 v15, 0x1000, v5
	v_add_u32_e32 v12, 0xfffffc10, v12
	v_med3_i32 v13, v16, 0, 13
	v_cmp_ne_u32_e32 vcc, 0, v5
	v_or_b32_e32 v17, 0x1000, v10
	v_lshrrev_b32_e32 v19, v7, v15
	v_add_u32_e32 v14, 0xfffffc10, v14
	v_lshl_or_b32 v16, v12, 12, v5
	v_cndmask_b32_e64 v5, 0, 1, vcc
	v_cmp_ne_u32_e32 vcc, 0, v10
	v_lshrrev_b32_e32 v20, v13, v17
	v_lshlrev_b32_e32 v7, v7, v19
	v_lshl_or_b32 v18, v14, 12, v10
	v_cndmask_b32_e64 v10, 0, 1, vcc
	v_lshlrev_b32_e32 v13, v13, v20
	v_cmp_ne_u32_e32 vcc, v7, v15
	v_cndmask_b32_e64 v7, 0, 1, vcc
	v_cmp_ne_u32_e32 vcc, v13, v17
	v_cndmask_b32_e64 v13, 0, 1, vcc
	v_or_b32_e32 v7, v19, v7
	v_cmp_gt_i32_e32 vcc, 1, v12
	v_cndmask_b32_e32 v7, v16, v7, vcc
	v_or_b32_e32 v13, v20, v13
	v_cmp_gt_i32_e32 vcc, 1, v14
	v_and_b32_e32 v15, 7, v7
	v_cndmask_b32_e32 v13, v18, v13, vcc
	v_cmp_lt_i32_e32 vcc, 5, v15
	v_cmp_eq_u32_e64 s[0:1], 3, v15
	v_lshrrev_b32_e32 v7, 2, v7
	v_and_b32_e32 v16, 7, v13
	s_or_b64 vcc, s[0:1], vcc
	v_cmp_lt_i32_e64 s[2:3], 5, v16
	v_cmp_eq_u32_e64 s[4:5], 3, v16
	v_addc_co_u32_e32 v7, vcc, 0, v7, vcc
	v_lshrrev_b32_e32 v13, 2, v13
	s_or_b64 vcc, s[4:5], s[2:3]
	v_addc_co_u32_e32 v13, vcc, 0, v13, vcc
	v_cmp_gt_i32_e32 vcc, 31, v12
	v_cndmask_b32_e32 v7, v2, v7, vcc
	v_cmp_gt_i32_e32 vcc, 31, v14
	v_lshl_or_b32 v5, v5, 9, v2
	v_cndmask_b32_e32 v13, v2, v13, vcc
	v_cmp_eq_u32_e32 vcc, s11, v12
	v_lshrrev_b32_e32 v6, 16, v6
	v_lshl_or_b32 v10, v10, 9, v2
	v_cndmask_b32_e32 v5, v7, v5, vcc
	v_cmp_eq_u32_e32 vcc, s11, v14
	v_lshrrev_b32_e32 v11, 16, v11
	v_cndmask_b32_e32 v7, v13, v10, vcc
	v_and_or_b32 v5, v6, s14, v5
	v_and_or_b32 v6, v11, s14, v7
	v_and_b32_e32 v5, 0xffff, v5
	v_lshl_or_b32 v5, v6, 16, v5
	global_store_dword v[0:1], v5, off
	global_load_dword v12, v[8:9], off offset:232
	ds_read2_b32 v[5:6], v46 offset0:58 offset1:73
	v_mad_u64_u32 v[10:11], s[0:1], s8, v47, 0
	v_mov_b32_e32 v7, v11
	s_waitcnt lgkmcnt(0)
	v_lshrrev_b32_e32 v11, 16, v5
	s_waitcnt vmcnt(0)
	v_mul_f16_sdwa v13, v11, v12 dst_sel:DWORD dst_unused:UNUSED_PAD src0_sel:DWORD src1_sel:WORD_1
	v_fma_f16 v13, v5, v12, v13
	v_mul_f16_sdwa v5, v5, v12 dst_sel:DWORD dst_unused:UNUSED_PAD src0_sel:DWORD src1_sel:WORD_1
	v_cvt_f32_f16_e32 v13, v13
	v_fma_f16 v5, v12, v11, -v5
	v_cvt_f32_f16_e32 v5, v5
	v_cvt_f64_f32_e32 v[11:12], v13
	v_mad_u64_u32 v[13:14], s[0:1], s9, v47, v[7:8]
	v_cvt_f64_f32_e32 v[14:15], v5
	v_mul_f64 v[16:17], v[11:12], s[12:13]
	v_mov_b32_e32 v11, v13
	v_lshlrev_b64 v[10:11], 2, v[10:11]
	v_mul_f64 v[12:13], v[14:15], s[12:13]
	v_add_co_u32_e32 v10, vcc, v3, v10
	v_addc_co_u32_e32 v11, vcc, v4, v11, vcc
	v_and_or_b32 v5, v17, s15, v16
	v_cmp_ne_u32_e32 vcc, 0, v5
	v_lshrrev_b32_e32 v7, 8, v17
	v_and_or_b32 v12, v13, s15, v12
	v_bfe_u32 v14, v17, 20, 11
	v_cndmask_b32_e64 v5, 0, 1, vcc
	v_cmp_ne_u32_e32 vcc, 0, v12
	v_lshrrev_b32_e32 v15, 16, v17
	v_lshrrev_b32_e32 v16, 8, v13
	v_bfe_u32 v17, v13, 20, 11
	v_sub_u32_e32 v18, 0x3f1, v14
	v_cndmask_b32_e64 v12, 0, 1, vcc
	v_and_or_b32 v5, v7, s10, v5
	v_sub_u32_e32 v19, 0x3f1, v17
	v_med3_i32 v7, v18, 0, 13
	v_and_or_b32 v12, v16, s10, v12
	v_or_b32_e32 v18, 0x1000, v5
	v_add_u32_e32 v14, 0xfffffc10, v14
	v_med3_i32 v16, v19, 0, 13
	v_cmp_ne_u32_e32 vcc, 0, v5
	v_or_b32_e32 v20, 0x1000, v12
	v_lshrrev_b32_e32 v22, v7, v18
	v_add_u32_e32 v17, 0xfffffc10, v17
	v_lshl_or_b32 v19, v14, 12, v5
	v_cndmask_b32_e64 v5, 0, 1, vcc
	v_cmp_ne_u32_e32 vcc, 0, v12
	v_lshrrev_b32_e32 v23, v16, v20
	v_lshlrev_b32_e32 v7, v7, v22
	v_lshl_or_b32 v21, v17, 12, v12
	v_cndmask_b32_e64 v12, 0, 1, vcc
	v_lshlrev_b32_e32 v16, v16, v23
	v_cmp_ne_u32_e32 vcc, v7, v18
	v_cndmask_b32_e64 v7, 0, 1, vcc
	v_cmp_ne_u32_e32 vcc, v16, v20
	v_cndmask_b32_e64 v16, 0, 1, vcc
	v_or_b32_e32 v7, v22, v7
	v_cmp_gt_i32_e32 vcc, 1, v14
	v_cndmask_b32_e32 v7, v19, v7, vcc
	v_or_b32_e32 v16, v23, v16
	v_cmp_gt_i32_e32 vcc, 1, v17
	v_and_b32_e32 v18, 7, v7
	v_cndmask_b32_e32 v16, v21, v16, vcc
	v_cmp_lt_i32_e32 vcc, 5, v18
	v_cmp_eq_u32_e64 s[0:1], 3, v18
	v_lshrrev_b32_e32 v7, 2, v7
	v_and_b32_e32 v19, 7, v16
	s_or_b64 vcc, s[0:1], vcc
	v_cmp_lt_i32_e64 s[2:3], 5, v19
	v_cmp_eq_u32_e64 s[4:5], 3, v19
	v_addc_co_u32_e32 v7, vcc, 0, v7, vcc
	v_lshrrev_b32_e32 v16, 2, v16
	s_or_b64 vcc, s[4:5], s[2:3]
	v_addc_co_u32_e32 v16, vcc, 0, v16, vcc
	v_cmp_gt_i32_e32 vcc, 31, v14
	v_cndmask_b32_e32 v7, v2, v7, vcc
	v_cmp_gt_i32_e32 vcc, 31, v17
	v_lshl_or_b32 v5, v5, 9, v2
	v_cndmask_b32_e32 v16, v2, v16, vcc
	v_cmp_eq_u32_e32 vcc, s11, v14
	v_lshl_or_b32 v12, v12, 9, v2
	v_cndmask_b32_e32 v5, v7, v5, vcc
	v_cmp_eq_u32_e32 vcc, s11, v17
	v_lshrrev_b32_e32 v13, 16, v13
	v_cndmask_b32_e32 v7, v16, v12, vcc
	v_and_or_b32 v5, v15, s14, v5
	v_and_or_b32 v7, v13, s14, v7
	v_and_b32_e32 v5, 0xffff, v5
	v_lshl_or_b32 v5, v7, 16, v5
	global_store_dword v[10:11], v5, off
	global_load_dword v5, v[8:9], off offset:292
	v_lshrrev_b32_e32 v7, 16, v6
	v_add_co_u32_e32 v0, vcc, s6, v0
	s_waitcnt vmcnt(0)
	v_mul_f16_sdwa v10, v7, v5 dst_sel:DWORD dst_unused:UNUSED_PAD src0_sel:DWORD src1_sel:WORD_1
	v_fma_f16 v10, v6, v5, v10
	v_mul_f16_sdwa v6, v6, v5 dst_sel:DWORD dst_unused:UNUSED_PAD src0_sel:DWORD src1_sel:WORD_1
	v_cvt_f32_f16_e32 v10, v10
	v_fma_f16 v5, v5, v7, -v6
	v_cvt_f32_f16_e32 v7, v5
	v_cvt_f64_f32_e32 v[5:6], v10
	v_cvt_f64_f32_e32 v[10:11], v7
	v_mov_b32_e32 v7, s7
	v_mul_f64 v[5:6], v[5:6], s[12:13]
	v_addc_co_u32_e32 v1, vcc, v1, v7, vcc
	v_mul_f64 v[10:11], v[10:11], s[12:13]
	v_and_or_b32 v5, v6, s15, v5
	v_cmp_ne_u32_e32 vcc, 0, v5
	v_lshrrev_b32_e32 v7, 8, v6
	v_and_or_b32 v10, v11, s15, v10
	v_bfe_u32 v12, v6, 20, 11
	v_cndmask_b32_e64 v5, 0, 1, vcc
	v_cmp_ne_u32_e32 vcc, 0, v10
	v_lshrrev_b32_e32 v13, 8, v11
	v_bfe_u32 v14, v11, 20, 11
	v_sub_u32_e32 v15, 0x3f1, v12
	v_cndmask_b32_e64 v10, 0, 1, vcc
	v_and_or_b32 v5, v7, s10, v5
	v_sub_u32_e32 v16, 0x3f1, v14
	v_med3_i32 v7, v15, 0, 13
	v_and_or_b32 v10, v13, s10, v10
	v_or_b32_e32 v15, 0x1000, v5
	v_add_u32_e32 v12, 0xfffffc10, v12
	v_med3_i32 v13, v16, 0, 13
	v_cmp_ne_u32_e32 vcc, 0, v5
	v_or_b32_e32 v17, 0x1000, v10
	v_lshrrev_b32_e32 v19, v7, v15
	v_add_u32_e32 v14, 0xfffffc10, v14
	v_lshl_or_b32 v16, v12, 12, v5
	v_cndmask_b32_e64 v5, 0, 1, vcc
	v_cmp_ne_u32_e32 vcc, 0, v10
	v_lshrrev_b32_e32 v20, v13, v17
	v_lshlrev_b32_e32 v7, v7, v19
	v_lshl_or_b32 v18, v14, 12, v10
	v_cndmask_b32_e64 v10, 0, 1, vcc
	v_lshlrev_b32_e32 v13, v13, v20
	v_cmp_ne_u32_e32 vcc, v7, v15
	v_cndmask_b32_e64 v7, 0, 1, vcc
	v_cmp_ne_u32_e32 vcc, v13, v17
	v_cndmask_b32_e64 v13, 0, 1, vcc
	v_or_b32_e32 v7, v19, v7
	v_cmp_gt_i32_e32 vcc, 1, v12
	v_cndmask_b32_e32 v7, v16, v7, vcc
	v_or_b32_e32 v13, v20, v13
	v_cmp_gt_i32_e32 vcc, 1, v14
	v_and_b32_e32 v15, 7, v7
	v_cndmask_b32_e32 v13, v18, v13, vcc
	v_cmp_lt_i32_e32 vcc, 5, v15
	v_cmp_eq_u32_e64 s[0:1], 3, v15
	v_lshrrev_b32_e32 v7, 2, v7
	v_and_b32_e32 v16, 7, v13
	s_or_b64 vcc, s[0:1], vcc
	v_cmp_lt_i32_e64 s[2:3], 5, v16
	v_cmp_eq_u32_e64 s[4:5], 3, v16
	v_addc_co_u32_e32 v7, vcc, 0, v7, vcc
	v_lshrrev_b32_e32 v13, 2, v13
	s_or_b64 vcc, s[4:5], s[2:3]
	v_addc_co_u32_e32 v13, vcc, 0, v13, vcc
	v_cmp_gt_i32_e32 vcc, 31, v12
	v_cndmask_b32_e32 v7, v2, v7, vcc
	v_cmp_gt_i32_e32 vcc, 31, v14
	v_lshl_or_b32 v5, v5, 9, v2
	v_cndmask_b32_e32 v13, v2, v13, vcc
	v_cmp_eq_u32_e32 vcc, s11, v12
	v_lshrrev_b32_e32 v6, 16, v6
	v_lshl_or_b32 v10, v10, 9, v2
	v_cndmask_b32_e32 v5, v7, v5, vcc
	v_cmp_eq_u32_e32 vcc, s11, v14
	v_lshrrev_b32_e32 v11, 16, v11
	v_cndmask_b32_e32 v7, v13, v10, vcc
	v_and_or_b32 v5, v6, s14, v5
	v_and_or_b32 v6, v11, s14, v7
	v_and_b32_e32 v5, 0xffff, v5
	v_lshl_or_b32 v5, v6, 16, v5
	global_store_dword v[0:1], v5, off
	global_load_dword v12, v[8:9], off offset:352
	ds_read2_b32 v[5:6], v46 offset0:88 offset1:103
	v_or_b32_e32 v13, 0x58, v45
	v_mad_u64_u32 v[10:11], s[0:1], s8, v13, 0
	s_waitcnt lgkmcnt(0)
	v_lshrrev_b32_e32 v14, 16, v5
	v_mov_b32_e32 v7, v11
	s_waitcnt vmcnt(0)
	v_mul_f16_sdwa v11, v14, v12 dst_sel:DWORD dst_unused:UNUSED_PAD src0_sel:DWORD src1_sel:WORD_1
	v_fma_f16 v11, v5, v12, v11
	v_mul_f16_sdwa v5, v5, v12 dst_sel:DWORD dst_unused:UNUSED_PAD src0_sel:DWORD src1_sel:WORD_1
	v_cvt_f32_f16_e32 v11, v11
	v_fma_f16 v5, v12, v14, -v5
	v_cvt_f32_f16_e32 v5, v5
	v_mad_u64_u32 v[13:14], s[0:1], s9, v13, v[7:8]
	v_cvt_f64_f32_e32 v[11:12], v11
	v_cvt_f64_f32_e32 v[14:15], v5
	v_mul_f64 v[16:17], v[11:12], s[12:13]
	v_mov_b32_e32 v11, v13
	v_mul_f64 v[12:13], v[14:15], s[12:13]
	v_lshlrev_b64 v[10:11], 2, v[10:11]
	v_add_co_u32_e32 v10, vcc, v3, v10
	v_addc_co_u32_e32 v11, vcc, v4, v11, vcc
	v_and_or_b32 v5, v17, s15, v16
	v_and_or_b32 v12, v13, s15, v12
	v_cmp_ne_u32_e32 vcc, 0, v5
	v_lshrrev_b32_e32 v7, 8, v17
	v_bfe_u32 v14, v17, 20, 11
	v_cndmask_b32_e64 v5, 0, 1, vcc
	v_cmp_ne_u32_e32 vcc, 0, v12
	v_lshrrev_b32_e32 v15, 16, v17
	v_lshrrev_b32_e32 v16, 8, v13
	v_bfe_u32 v17, v13, 20, 11
	v_sub_u32_e32 v18, 0x3f1, v14
	v_cndmask_b32_e64 v12, 0, 1, vcc
	v_and_or_b32 v5, v7, s10, v5
	v_sub_u32_e32 v19, 0x3f1, v17
	v_med3_i32 v7, v18, 0, 13
	v_and_or_b32 v12, v16, s10, v12
	v_or_b32_e32 v18, 0x1000, v5
	v_add_u32_e32 v14, 0xfffffc10, v14
	v_med3_i32 v16, v19, 0, 13
	v_cmp_ne_u32_e32 vcc, 0, v5
	v_or_b32_e32 v20, 0x1000, v12
	v_lshrrev_b32_e32 v22, v7, v18
	v_add_u32_e32 v17, 0xfffffc10, v17
	v_lshl_or_b32 v19, v14, 12, v5
	v_cndmask_b32_e64 v5, 0, 1, vcc
	v_cmp_ne_u32_e32 vcc, 0, v12
	v_lshrrev_b32_e32 v23, v16, v20
	v_lshlrev_b32_e32 v7, v7, v22
	v_lshl_or_b32 v21, v17, 12, v12
	v_cndmask_b32_e64 v12, 0, 1, vcc
	v_lshlrev_b32_e32 v16, v16, v23
	v_cmp_ne_u32_e32 vcc, v7, v18
	v_cndmask_b32_e64 v7, 0, 1, vcc
	v_cmp_ne_u32_e32 vcc, v16, v20
	v_cndmask_b32_e64 v16, 0, 1, vcc
	v_or_b32_e32 v7, v22, v7
	v_cmp_gt_i32_e32 vcc, 1, v14
	v_cndmask_b32_e32 v7, v19, v7, vcc
	v_or_b32_e32 v16, v23, v16
	v_cmp_gt_i32_e32 vcc, 1, v17
	v_and_b32_e32 v18, 7, v7
	v_cndmask_b32_e32 v16, v21, v16, vcc
	v_cmp_lt_i32_e32 vcc, 5, v18
	v_cmp_eq_u32_e64 s[0:1], 3, v18
	v_lshrrev_b32_e32 v7, 2, v7
	v_and_b32_e32 v19, 7, v16
	s_or_b64 vcc, s[0:1], vcc
	v_cmp_lt_i32_e64 s[2:3], 5, v19
	v_cmp_eq_u32_e64 s[4:5], 3, v19
	v_addc_co_u32_e32 v7, vcc, 0, v7, vcc
	v_lshrrev_b32_e32 v16, 2, v16
	s_or_b64 vcc, s[4:5], s[2:3]
	v_addc_co_u32_e32 v16, vcc, 0, v16, vcc
	v_cmp_gt_i32_e32 vcc, 31, v14
	v_cndmask_b32_e32 v7, v2, v7, vcc
	v_cmp_gt_i32_e32 vcc, 31, v17
	v_lshl_or_b32 v5, v5, 9, v2
	v_cndmask_b32_e32 v16, v2, v16, vcc
	v_cmp_eq_u32_e32 vcc, s11, v14
	v_lshl_or_b32 v12, v12, 9, v2
	v_cndmask_b32_e32 v5, v7, v5, vcc
	v_cmp_eq_u32_e32 vcc, s11, v17
	v_lshrrev_b32_e32 v13, 16, v13
	v_cndmask_b32_e32 v7, v16, v12, vcc
	v_and_or_b32 v5, v15, s14, v5
	v_and_or_b32 v7, v13, s14, v7
	v_and_b32_e32 v5, 0xffff, v5
	v_lshl_or_b32 v5, v7, 16, v5
	global_store_dword v[10:11], v5, off
	global_load_dword v5, v[8:9], off offset:412
	v_lshrrev_b32_e32 v7, 16, v6
	v_add_co_u32_e32 v0, vcc, s6, v0
	s_waitcnt vmcnt(0)
	v_mul_f16_sdwa v10, v7, v5 dst_sel:DWORD dst_unused:UNUSED_PAD src0_sel:DWORD src1_sel:WORD_1
	v_fma_f16 v10, v6, v5, v10
	v_mul_f16_sdwa v6, v6, v5 dst_sel:DWORD dst_unused:UNUSED_PAD src0_sel:DWORD src1_sel:WORD_1
	v_cvt_f32_f16_e32 v10, v10
	v_fma_f16 v5, v5, v7, -v6
	v_cvt_f32_f16_e32 v7, v5
	v_cvt_f64_f32_e32 v[5:6], v10
	v_cvt_f64_f32_e32 v[10:11], v7
	v_mov_b32_e32 v7, s7
	v_mul_f64 v[5:6], v[5:6], s[12:13]
	v_addc_co_u32_e32 v1, vcc, v1, v7, vcc
	v_mul_f64 v[10:11], v[10:11], s[12:13]
	v_and_or_b32 v5, v6, s15, v5
	v_cmp_ne_u32_e32 vcc, 0, v5
	v_lshrrev_b32_e32 v7, 8, v6
	v_and_or_b32 v10, v11, s15, v10
	v_bfe_u32 v12, v6, 20, 11
	v_cndmask_b32_e64 v5, 0, 1, vcc
	v_cmp_ne_u32_e32 vcc, 0, v10
	v_lshrrev_b32_e32 v13, 8, v11
	v_bfe_u32 v14, v11, 20, 11
	v_sub_u32_e32 v15, 0x3f1, v12
	v_cndmask_b32_e64 v10, 0, 1, vcc
	v_and_or_b32 v5, v7, s10, v5
	v_sub_u32_e32 v16, 0x3f1, v14
	v_med3_i32 v7, v15, 0, 13
	v_and_or_b32 v10, v13, s10, v10
	v_or_b32_e32 v15, 0x1000, v5
	v_add_u32_e32 v12, 0xfffffc10, v12
	v_med3_i32 v13, v16, 0, 13
	v_cmp_ne_u32_e32 vcc, 0, v5
	v_or_b32_e32 v17, 0x1000, v10
	v_lshrrev_b32_e32 v19, v7, v15
	v_add_u32_e32 v14, 0xfffffc10, v14
	v_lshl_or_b32 v16, v12, 12, v5
	v_cndmask_b32_e64 v5, 0, 1, vcc
	v_cmp_ne_u32_e32 vcc, 0, v10
	v_lshrrev_b32_e32 v20, v13, v17
	v_lshlrev_b32_e32 v7, v7, v19
	v_lshl_or_b32 v18, v14, 12, v10
	v_cndmask_b32_e64 v10, 0, 1, vcc
	v_lshlrev_b32_e32 v13, v13, v20
	v_cmp_ne_u32_e32 vcc, v7, v15
	v_cndmask_b32_e64 v7, 0, 1, vcc
	v_cmp_ne_u32_e32 vcc, v13, v17
	v_cndmask_b32_e64 v13, 0, 1, vcc
	v_or_b32_e32 v7, v19, v7
	v_cmp_gt_i32_e32 vcc, 1, v12
	v_cndmask_b32_e32 v7, v16, v7, vcc
	v_or_b32_e32 v13, v20, v13
	v_cmp_gt_i32_e32 vcc, 1, v14
	v_and_b32_e32 v15, 7, v7
	v_cndmask_b32_e32 v13, v18, v13, vcc
	v_cmp_lt_i32_e32 vcc, 5, v15
	v_cmp_eq_u32_e64 s[0:1], 3, v15
	v_lshrrev_b32_e32 v7, 2, v7
	v_and_b32_e32 v16, 7, v13
	s_or_b64 vcc, s[0:1], vcc
	v_cmp_lt_i32_e64 s[2:3], 5, v16
	v_cmp_eq_u32_e64 s[4:5], 3, v16
	v_addc_co_u32_e32 v7, vcc, 0, v7, vcc
	v_lshrrev_b32_e32 v13, 2, v13
	s_or_b64 vcc, s[4:5], s[2:3]
	v_addc_co_u32_e32 v13, vcc, 0, v13, vcc
	v_cmp_gt_i32_e32 vcc, 31, v12
	v_cndmask_b32_e32 v7, v2, v7, vcc
	v_cmp_gt_i32_e32 vcc, 31, v14
	v_lshl_or_b32 v5, v5, 9, v2
	v_cndmask_b32_e32 v13, v2, v13, vcc
	v_cmp_eq_u32_e32 vcc, s11, v12
	v_lshrrev_b32_e32 v6, 16, v6
	v_lshl_or_b32 v10, v10, 9, v2
	v_cndmask_b32_e32 v5, v7, v5, vcc
	v_cmp_eq_u32_e32 vcc, s11, v14
	v_lshrrev_b32_e32 v11, 16, v11
	v_cndmask_b32_e32 v7, v13, v10, vcc
	v_and_or_b32 v5, v6, s14, v5
	v_and_or_b32 v6, v11, s14, v7
	v_and_b32_e32 v5, 0xffff, v5
	v_lshl_or_b32 v5, v6, 16, v5
	global_store_dword v[0:1], v5, off
	global_load_dword v12, v[8:9], off offset:472
	ds_read2_b32 v[5:6], v46 offset0:118 offset1:133
	v_or_b32_e32 v13, 0x76, v45
	v_mad_u64_u32 v[10:11], s[0:1], s8, v13, 0
	s_waitcnt lgkmcnt(0)
	v_lshrrev_b32_e32 v14, 16, v5
	v_mov_b32_e32 v7, v11
	s_waitcnt vmcnt(0)
	v_mul_f16_sdwa v11, v14, v12 dst_sel:DWORD dst_unused:UNUSED_PAD src0_sel:DWORD src1_sel:WORD_1
	v_fma_f16 v11, v5, v12, v11
	v_mul_f16_sdwa v5, v5, v12 dst_sel:DWORD dst_unused:UNUSED_PAD src0_sel:DWORD src1_sel:WORD_1
	v_cvt_f32_f16_e32 v11, v11
	v_fma_f16 v5, v12, v14, -v5
	v_cvt_f32_f16_e32 v5, v5
	v_mad_u64_u32 v[13:14], s[0:1], s9, v13, v[7:8]
	v_cvt_f64_f32_e32 v[11:12], v11
	v_cvt_f64_f32_e32 v[14:15], v5
	v_mul_f64 v[16:17], v[11:12], s[12:13]
	v_mov_b32_e32 v11, v13
	v_mul_f64 v[12:13], v[14:15], s[12:13]
	v_lshlrev_b64 v[10:11], 2, v[10:11]
	v_add_co_u32_e32 v10, vcc, v3, v10
	v_addc_co_u32_e32 v11, vcc, v4, v11, vcc
	v_and_or_b32 v5, v17, s15, v16
	v_and_or_b32 v12, v13, s15, v12
	v_cmp_ne_u32_e32 vcc, 0, v5
	v_lshrrev_b32_e32 v7, 8, v17
	v_bfe_u32 v14, v17, 20, 11
	v_cndmask_b32_e64 v5, 0, 1, vcc
	v_cmp_ne_u32_e32 vcc, 0, v12
	v_lshrrev_b32_e32 v15, 16, v17
	v_lshrrev_b32_e32 v16, 8, v13
	v_bfe_u32 v17, v13, 20, 11
	v_sub_u32_e32 v18, 0x3f1, v14
	v_cndmask_b32_e64 v12, 0, 1, vcc
	v_and_or_b32 v5, v7, s10, v5
	v_sub_u32_e32 v19, 0x3f1, v17
	v_med3_i32 v7, v18, 0, 13
	v_and_or_b32 v12, v16, s10, v12
	v_or_b32_e32 v18, 0x1000, v5
	v_add_u32_e32 v14, 0xfffffc10, v14
	v_med3_i32 v16, v19, 0, 13
	v_cmp_ne_u32_e32 vcc, 0, v5
	v_or_b32_e32 v20, 0x1000, v12
	v_lshrrev_b32_e32 v22, v7, v18
	v_add_u32_e32 v17, 0xfffffc10, v17
	v_lshl_or_b32 v19, v14, 12, v5
	v_cndmask_b32_e64 v5, 0, 1, vcc
	v_cmp_ne_u32_e32 vcc, 0, v12
	v_lshrrev_b32_e32 v23, v16, v20
	v_lshlrev_b32_e32 v7, v7, v22
	v_lshl_or_b32 v21, v17, 12, v12
	v_cndmask_b32_e64 v12, 0, 1, vcc
	v_lshlrev_b32_e32 v16, v16, v23
	v_cmp_ne_u32_e32 vcc, v7, v18
	v_cndmask_b32_e64 v7, 0, 1, vcc
	v_cmp_ne_u32_e32 vcc, v16, v20
	v_cndmask_b32_e64 v16, 0, 1, vcc
	v_or_b32_e32 v7, v22, v7
	v_cmp_gt_i32_e32 vcc, 1, v14
	v_cndmask_b32_e32 v7, v19, v7, vcc
	v_or_b32_e32 v16, v23, v16
	v_cmp_gt_i32_e32 vcc, 1, v17
	v_and_b32_e32 v18, 7, v7
	v_cndmask_b32_e32 v16, v21, v16, vcc
	v_cmp_lt_i32_e32 vcc, 5, v18
	v_cmp_eq_u32_e64 s[0:1], 3, v18
	v_lshrrev_b32_e32 v7, 2, v7
	v_and_b32_e32 v19, 7, v16
	s_or_b64 vcc, s[0:1], vcc
	v_cmp_lt_i32_e64 s[2:3], 5, v19
	v_cmp_eq_u32_e64 s[4:5], 3, v19
	v_addc_co_u32_e32 v7, vcc, 0, v7, vcc
	v_lshrrev_b32_e32 v16, 2, v16
	s_or_b64 vcc, s[4:5], s[2:3]
	v_addc_co_u32_e32 v16, vcc, 0, v16, vcc
	v_cmp_gt_i32_e32 vcc, 31, v14
	v_cndmask_b32_e32 v7, v2, v7, vcc
	v_cmp_gt_i32_e32 vcc, 31, v17
	v_lshl_or_b32 v5, v5, 9, v2
	v_cndmask_b32_e32 v16, v2, v16, vcc
	v_cmp_eq_u32_e32 vcc, s11, v14
	v_lshl_or_b32 v12, v12, 9, v2
	v_cndmask_b32_e32 v5, v7, v5, vcc
	v_cmp_eq_u32_e32 vcc, s11, v17
	v_lshrrev_b32_e32 v13, 16, v13
	v_cndmask_b32_e32 v7, v16, v12, vcc
	v_and_or_b32 v5, v15, s14, v5
	v_and_or_b32 v7, v13, s14, v7
	v_and_b32_e32 v5, 0xffff, v5
	v_lshl_or_b32 v5, v7, 16, v5
	global_store_dword v[10:11], v5, off
	global_load_dword v5, v[8:9], off offset:532
	v_lshrrev_b32_e32 v7, 16, v6
	v_add_co_u32_e32 v0, vcc, s6, v0
	s_waitcnt vmcnt(0)
	v_mul_f16_sdwa v10, v7, v5 dst_sel:DWORD dst_unused:UNUSED_PAD src0_sel:DWORD src1_sel:WORD_1
	v_fma_f16 v10, v6, v5, v10
	v_mul_f16_sdwa v6, v6, v5 dst_sel:DWORD dst_unused:UNUSED_PAD src0_sel:DWORD src1_sel:WORD_1
	v_cvt_f32_f16_e32 v10, v10
	v_fma_f16 v5, v5, v7, -v6
	v_cvt_f32_f16_e32 v7, v5
	v_cvt_f64_f32_e32 v[5:6], v10
	v_cvt_f64_f32_e32 v[10:11], v7
	v_mov_b32_e32 v7, s7
	v_mul_f64 v[5:6], v[5:6], s[12:13]
	v_addc_co_u32_e32 v1, vcc, v1, v7, vcc
	v_mul_f64 v[10:11], v[10:11], s[12:13]
	v_and_or_b32 v5, v6, s15, v5
	v_cmp_ne_u32_e32 vcc, 0, v5
	v_lshrrev_b32_e32 v7, 8, v6
	v_and_or_b32 v10, v11, s15, v10
	v_bfe_u32 v12, v6, 20, 11
	v_cndmask_b32_e64 v5, 0, 1, vcc
	v_cmp_ne_u32_e32 vcc, 0, v10
	v_lshrrev_b32_e32 v13, 8, v11
	v_bfe_u32 v14, v11, 20, 11
	v_sub_u32_e32 v15, 0x3f1, v12
	v_cndmask_b32_e64 v10, 0, 1, vcc
	v_and_or_b32 v5, v7, s10, v5
	v_sub_u32_e32 v16, 0x3f1, v14
	v_med3_i32 v7, v15, 0, 13
	v_and_or_b32 v10, v13, s10, v10
	v_or_b32_e32 v15, 0x1000, v5
	v_add_u32_e32 v12, 0xfffffc10, v12
	v_med3_i32 v13, v16, 0, 13
	v_cmp_ne_u32_e32 vcc, 0, v5
	v_or_b32_e32 v17, 0x1000, v10
	v_lshrrev_b32_e32 v19, v7, v15
	v_add_u32_e32 v14, 0xfffffc10, v14
	v_lshl_or_b32 v16, v12, 12, v5
	v_cndmask_b32_e64 v5, 0, 1, vcc
	v_cmp_ne_u32_e32 vcc, 0, v10
	v_lshrrev_b32_e32 v20, v13, v17
	v_lshlrev_b32_e32 v7, v7, v19
	v_lshl_or_b32 v18, v14, 12, v10
	v_cndmask_b32_e64 v10, 0, 1, vcc
	v_lshlrev_b32_e32 v13, v13, v20
	v_cmp_ne_u32_e32 vcc, v7, v15
	v_cndmask_b32_e64 v7, 0, 1, vcc
	v_cmp_ne_u32_e32 vcc, v13, v17
	v_cndmask_b32_e64 v13, 0, 1, vcc
	v_or_b32_e32 v7, v19, v7
	v_cmp_gt_i32_e32 vcc, 1, v12
	v_cndmask_b32_e32 v7, v16, v7, vcc
	v_or_b32_e32 v13, v20, v13
	v_cmp_gt_i32_e32 vcc, 1, v14
	v_and_b32_e32 v15, 7, v7
	v_cndmask_b32_e32 v13, v18, v13, vcc
	v_cmp_lt_i32_e32 vcc, 5, v15
	v_cmp_eq_u32_e64 s[0:1], 3, v15
	v_lshrrev_b32_e32 v7, 2, v7
	v_and_b32_e32 v16, 7, v13
	s_or_b64 vcc, s[0:1], vcc
	v_cmp_lt_i32_e64 s[2:3], 5, v16
	v_cmp_eq_u32_e64 s[4:5], 3, v16
	v_addc_co_u32_e32 v7, vcc, 0, v7, vcc
	v_lshrrev_b32_e32 v13, 2, v13
	s_or_b64 vcc, s[4:5], s[2:3]
	v_addc_co_u32_e32 v13, vcc, 0, v13, vcc
	v_cmp_gt_i32_e32 vcc, 31, v12
	v_cndmask_b32_e32 v7, v2, v7, vcc
	v_cmp_gt_i32_e32 vcc, 31, v14
	v_lshl_or_b32 v5, v5, 9, v2
	v_cndmask_b32_e32 v13, v2, v13, vcc
	v_cmp_eq_u32_e32 vcc, s11, v12
	v_lshrrev_b32_e32 v6, 16, v6
	v_lshl_or_b32 v10, v10, 9, v2
	v_cndmask_b32_e32 v5, v7, v5, vcc
	v_cmp_eq_u32_e32 vcc, s11, v14
	v_lshrrev_b32_e32 v11, 16, v11
	v_cndmask_b32_e32 v7, v13, v10, vcc
	v_and_or_b32 v5, v6, s14, v5
	v_and_or_b32 v6, v11, s14, v7
	v_and_b32_e32 v5, 0xffff, v5
	v_lshl_or_b32 v5, v6, 16, v5
	global_store_dword v[0:1], v5, off
	global_load_dword v12, v[8:9], off offset:592
	ds_read2_b32 v[5:6], v46 offset0:148 offset1:163
	v_or_b32_e32 v13, 0x94, v45
	v_mad_u64_u32 v[10:11], s[0:1], s8, v13, 0
	s_waitcnt lgkmcnt(0)
	v_lshrrev_b32_e32 v14, 16, v5
	v_mov_b32_e32 v7, v11
	s_waitcnt vmcnt(0)
	v_mul_f16_sdwa v11, v14, v12 dst_sel:DWORD dst_unused:UNUSED_PAD src0_sel:DWORD src1_sel:WORD_1
	v_fma_f16 v11, v5, v12, v11
	v_mul_f16_sdwa v5, v5, v12 dst_sel:DWORD dst_unused:UNUSED_PAD src0_sel:DWORD src1_sel:WORD_1
	v_cvt_f32_f16_e32 v11, v11
	v_fma_f16 v5, v12, v14, -v5
	v_cvt_f32_f16_e32 v5, v5
	v_mad_u64_u32 v[13:14], s[0:1], s9, v13, v[7:8]
	v_cvt_f64_f32_e32 v[11:12], v11
	v_cvt_f64_f32_e32 v[14:15], v5
	v_mul_f64 v[16:17], v[11:12], s[12:13]
	v_mov_b32_e32 v11, v13
	v_mul_f64 v[12:13], v[14:15], s[12:13]
	v_lshlrev_b64 v[10:11], 2, v[10:11]
	v_add_co_u32_e32 v10, vcc, v3, v10
	v_addc_co_u32_e32 v11, vcc, v4, v11, vcc
	v_and_or_b32 v5, v17, s15, v16
	v_and_or_b32 v12, v13, s15, v12
	v_cmp_ne_u32_e32 vcc, 0, v5
	v_lshrrev_b32_e32 v7, 8, v17
	v_bfe_u32 v14, v17, 20, 11
	v_cndmask_b32_e64 v5, 0, 1, vcc
	v_cmp_ne_u32_e32 vcc, 0, v12
	v_lshrrev_b32_e32 v15, 16, v17
	v_lshrrev_b32_e32 v16, 8, v13
	v_bfe_u32 v17, v13, 20, 11
	v_sub_u32_e32 v18, 0x3f1, v14
	v_cndmask_b32_e64 v12, 0, 1, vcc
	v_and_or_b32 v5, v7, s10, v5
	v_sub_u32_e32 v19, 0x3f1, v17
	v_med3_i32 v7, v18, 0, 13
	v_and_or_b32 v12, v16, s10, v12
	v_or_b32_e32 v18, 0x1000, v5
	v_add_u32_e32 v14, 0xfffffc10, v14
	v_med3_i32 v16, v19, 0, 13
	v_cmp_ne_u32_e32 vcc, 0, v5
	v_or_b32_e32 v20, 0x1000, v12
	v_lshrrev_b32_e32 v22, v7, v18
	v_add_u32_e32 v17, 0xfffffc10, v17
	v_lshl_or_b32 v19, v14, 12, v5
	v_cndmask_b32_e64 v5, 0, 1, vcc
	v_cmp_ne_u32_e32 vcc, 0, v12
	v_lshrrev_b32_e32 v23, v16, v20
	v_lshlrev_b32_e32 v7, v7, v22
	v_lshl_or_b32 v21, v17, 12, v12
	v_cndmask_b32_e64 v12, 0, 1, vcc
	v_lshlrev_b32_e32 v16, v16, v23
	v_cmp_ne_u32_e32 vcc, v7, v18
	v_cndmask_b32_e64 v7, 0, 1, vcc
	v_cmp_ne_u32_e32 vcc, v16, v20
	v_cndmask_b32_e64 v16, 0, 1, vcc
	v_or_b32_e32 v7, v22, v7
	v_cmp_gt_i32_e32 vcc, 1, v14
	v_cndmask_b32_e32 v7, v19, v7, vcc
	v_or_b32_e32 v16, v23, v16
	v_cmp_gt_i32_e32 vcc, 1, v17
	v_and_b32_e32 v18, 7, v7
	v_cndmask_b32_e32 v16, v21, v16, vcc
	v_cmp_lt_i32_e32 vcc, 5, v18
	v_cmp_eq_u32_e64 s[0:1], 3, v18
	v_lshrrev_b32_e32 v7, 2, v7
	v_and_b32_e32 v19, 7, v16
	s_or_b64 vcc, s[0:1], vcc
	v_cmp_lt_i32_e64 s[2:3], 5, v19
	v_cmp_eq_u32_e64 s[4:5], 3, v19
	v_addc_co_u32_e32 v7, vcc, 0, v7, vcc
	v_lshrrev_b32_e32 v16, 2, v16
	s_or_b64 vcc, s[4:5], s[2:3]
	v_addc_co_u32_e32 v16, vcc, 0, v16, vcc
	v_cmp_gt_i32_e32 vcc, 31, v14
	v_cndmask_b32_e32 v7, v2, v7, vcc
	v_cmp_gt_i32_e32 vcc, 31, v17
	v_lshl_or_b32 v5, v5, 9, v2
	v_cndmask_b32_e32 v16, v2, v16, vcc
	v_cmp_eq_u32_e32 vcc, s11, v14
	v_lshl_or_b32 v12, v12, 9, v2
	v_cndmask_b32_e32 v5, v7, v5, vcc
	v_cmp_eq_u32_e32 vcc, s11, v17
	v_lshrrev_b32_e32 v13, 16, v13
	v_cndmask_b32_e32 v7, v16, v12, vcc
	v_and_or_b32 v5, v15, s14, v5
	v_and_or_b32 v7, v13, s14, v7
	v_and_b32_e32 v5, 0xffff, v5
	v_lshl_or_b32 v5, v7, 16, v5
	global_store_dword v[10:11], v5, off
	global_load_dword v5, v[8:9], off offset:652
	v_lshrrev_b32_e32 v7, 16, v6
	v_add_co_u32_e32 v0, vcc, s6, v0
	s_waitcnt vmcnt(0)
	v_mul_f16_sdwa v10, v7, v5 dst_sel:DWORD dst_unused:UNUSED_PAD src0_sel:DWORD src1_sel:WORD_1
	v_fma_f16 v10, v6, v5, v10
	v_mul_f16_sdwa v6, v6, v5 dst_sel:DWORD dst_unused:UNUSED_PAD src0_sel:DWORD src1_sel:WORD_1
	v_cvt_f32_f16_e32 v10, v10
	v_fma_f16 v5, v5, v7, -v6
	v_cvt_f32_f16_e32 v7, v5
	v_cvt_f64_f32_e32 v[5:6], v10
	v_cvt_f64_f32_e32 v[10:11], v7
	v_mov_b32_e32 v7, s7
	v_mul_f64 v[5:6], v[5:6], s[12:13]
	v_addc_co_u32_e32 v1, vcc, v1, v7, vcc
	v_mul_f64 v[10:11], v[10:11], s[12:13]
	v_and_or_b32 v5, v6, s15, v5
	v_cmp_ne_u32_e32 vcc, 0, v5
	v_lshrrev_b32_e32 v7, 8, v6
	v_and_or_b32 v10, v11, s15, v10
	v_bfe_u32 v12, v6, 20, 11
	v_cndmask_b32_e64 v5, 0, 1, vcc
	v_cmp_ne_u32_e32 vcc, 0, v10
	v_lshrrev_b32_e32 v13, 8, v11
	v_bfe_u32 v14, v11, 20, 11
	v_sub_u32_e32 v15, 0x3f1, v12
	v_cndmask_b32_e64 v10, 0, 1, vcc
	v_and_or_b32 v5, v7, s10, v5
	v_sub_u32_e32 v16, 0x3f1, v14
	v_med3_i32 v7, v15, 0, 13
	v_and_or_b32 v10, v13, s10, v10
	v_or_b32_e32 v15, 0x1000, v5
	v_add_u32_e32 v12, 0xfffffc10, v12
	v_med3_i32 v13, v16, 0, 13
	v_cmp_ne_u32_e32 vcc, 0, v5
	v_or_b32_e32 v17, 0x1000, v10
	v_lshrrev_b32_e32 v19, v7, v15
	v_add_u32_e32 v14, 0xfffffc10, v14
	v_lshl_or_b32 v16, v12, 12, v5
	v_cndmask_b32_e64 v5, 0, 1, vcc
	v_cmp_ne_u32_e32 vcc, 0, v10
	v_lshrrev_b32_e32 v20, v13, v17
	v_lshlrev_b32_e32 v7, v7, v19
	v_lshl_or_b32 v18, v14, 12, v10
	v_cndmask_b32_e64 v10, 0, 1, vcc
	v_lshlrev_b32_e32 v13, v13, v20
	v_cmp_ne_u32_e32 vcc, v7, v15
	v_cndmask_b32_e64 v7, 0, 1, vcc
	v_cmp_ne_u32_e32 vcc, v13, v17
	v_cndmask_b32_e64 v13, 0, 1, vcc
	v_or_b32_e32 v7, v19, v7
	v_cmp_gt_i32_e32 vcc, 1, v12
	v_cndmask_b32_e32 v7, v16, v7, vcc
	v_or_b32_e32 v13, v20, v13
	v_cmp_gt_i32_e32 vcc, 1, v14
	v_and_b32_e32 v15, 7, v7
	v_cndmask_b32_e32 v13, v18, v13, vcc
	v_cmp_lt_i32_e32 vcc, 5, v15
	v_cmp_eq_u32_e64 s[0:1], 3, v15
	v_lshrrev_b32_e32 v7, 2, v7
	v_and_b32_e32 v16, 7, v13
	s_or_b64 vcc, s[0:1], vcc
	v_cmp_lt_i32_e64 s[2:3], 5, v16
	v_cmp_eq_u32_e64 s[4:5], 3, v16
	v_addc_co_u32_e32 v7, vcc, 0, v7, vcc
	v_lshrrev_b32_e32 v13, 2, v13
	s_or_b64 vcc, s[4:5], s[2:3]
	v_addc_co_u32_e32 v13, vcc, 0, v13, vcc
	v_cmp_gt_i32_e32 vcc, 31, v12
	v_cndmask_b32_e32 v7, v2, v7, vcc
	v_cmp_gt_i32_e32 vcc, 31, v14
	v_lshl_or_b32 v5, v5, 9, v2
	v_cndmask_b32_e32 v13, v2, v13, vcc
	v_cmp_eq_u32_e32 vcc, s11, v12
	v_lshrrev_b32_e32 v6, 16, v6
	v_lshl_or_b32 v10, v10, 9, v2
	v_cndmask_b32_e32 v5, v7, v5, vcc
	v_cmp_eq_u32_e32 vcc, s11, v14
	v_lshrrev_b32_e32 v11, 16, v11
	v_cndmask_b32_e32 v7, v13, v10, vcc
	v_and_or_b32 v5, v6, s14, v5
	v_and_or_b32 v6, v11, s14, v7
	v_and_b32_e32 v5, 0xffff, v5
	v_lshl_or_b32 v5, v6, 16, v5
	global_store_dword v[0:1], v5, off
	global_load_dword v12, v[8:9], off offset:712
	ds_read2_b32 v[5:6], v46 offset0:178 offset1:193
	v_or_b32_e32 v13, 0xb2, v45
	v_mad_u64_u32 v[10:11], s[0:1], s8, v13, 0
	s_waitcnt lgkmcnt(0)
	v_lshrrev_b32_e32 v14, 16, v5
	v_mov_b32_e32 v7, v11
	s_waitcnt vmcnt(0)
	v_mul_f16_sdwa v11, v14, v12 dst_sel:DWORD dst_unused:UNUSED_PAD src0_sel:DWORD src1_sel:WORD_1
	v_fma_f16 v11, v5, v12, v11
	v_mul_f16_sdwa v5, v5, v12 dst_sel:DWORD dst_unused:UNUSED_PAD src0_sel:DWORD src1_sel:WORD_1
	v_cvt_f32_f16_e32 v11, v11
	v_fma_f16 v5, v12, v14, -v5
	v_cvt_f32_f16_e32 v5, v5
	v_mad_u64_u32 v[13:14], s[0:1], s9, v13, v[7:8]
	v_cvt_f64_f32_e32 v[11:12], v11
	v_cvt_f64_f32_e32 v[14:15], v5
	v_mul_f64 v[16:17], v[11:12], s[12:13]
	v_mov_b32_e32 v11, v13
	v_mul_f64 v[12:13], v[14:15], s[12:13]
	v_lshlrev_b64 v[10:11], 2, v[10:11]
	v_add_co_u32_e32 v3, vcc, v3, v10
	v_addc_co_u32_e32 v4, vcc, v4, v11, vcc
	v_and_or_b32 v5, v17, s15, v16
	v_and_or_b32 v12, v13, s15, v12
	v_cmp_ne_u32_e32 vcc, 0, v5
	v_lshrrev_b32_e32 v7, 8, v17
	v_bfe_u32 v10, v17, 20, 11
	v_cndmask_b32_e64 v5, 0, 1, vcc
	v_cmp_ne_u32_e32 vcc, 0, v12
	v_lshrrev_b32_e32 v14, 8, v13
	v_bfe_u32 v15, v13, 20, 11
	v_sub_u32_e32 v16, 0x3f1, v10
	v_cndmask_b32_e64 v12, 0, 1, vcc
	v_and_or_b32 v5, v7, s10, v5
	v_lshrrev_b32_e32 v11, 16, v17
	v_sub_u32_e32 v17, 0x3f1, v15
	v_med3_i32 v7, v16, 0, 13
	v_and_or_b32 v12, v14, s10, v12
	v_or_b32_e32 v16, 0x1000, v5
	v_add_u32_e32 v10, 0xfffffc10, v10
	v_med3_i32 v14, v17, 0, 13
	v_cmp_ne_u32_e32 vcc, 0, v5
	v_or_b32_e32 v18, 0x1000, v12
	v_lshrrev_b32_e32 v20, v7, v16
	v_add_u32_e32 v15, 0xfffffc10, v15
	v_lshl_or_b32 v17, v10, 12, v5
	v_cndmask_b32_e64 v5, 0, 1, vcc
	v_cmp_ne_u32_e32 vcc, 0, v12
	v_lshrrev_b32_e32 v21, v14, v18
	v_lshlrev_b32_e32 v7, v7, v20
	v_lshl_or_b32 v19, v15, 12, v12
	v_cndmask_b32_e64 v12, 0, 1, vcc
	v_lshlrev_b32_e32 v14, v14, v21
	v_cmp_ne_u32_e32 vcc, v7, v16
	v_cndmask_b32_e64 v7, 0, 1, vcc
	v_cmp_ne_u32_e32 vcc, v14, v18
	v_cndmask_b32_e64 v14, 0, 1, vcc
	v_or_b32_e32 v7, v20, v7
	v_cmp_gt_i32_e32 vcc, 1, v10
	v_cndmask_b32_e32 v7, v17, v7, vcc
	v_or_b32_e32 v14, v21, v14
	v_cmp_gt_i32_e32 vcc, 1, v15
	v_and_b32_e32 v16, 7, v7
	v_cndmask_b32_e32 v14, v19, v14, vcc
	v_cmp_lt_i32_e32 vcc, 5, v16
	v_cmp_eq_u32_e64 s[0:1], 3, v16
	v_lshrrev_b32_e32 v7, 2, v7
	v_and_b32_e32 v17, 7, v14
	s_or_b64 vcc, s[0:1], vcc
	v_cmp_lt_i32_e64 s[2:3], 5, v17
	v_cmp_eq_u32_e64 s[4:5], 3, v17
	v_addc_co_u32_e32 v7, vcc, 0, v7, vcc
	v_lshrrev_b32_e32 v14, 2, v14
	s_or_b64 vcc, s[4:5], s[2:3]
	v_addc_co_u32_e32 v14, vcc, 0, v14, vcc
	v_cmp_gt_i32_e32 vcc, 31, v10
	v_cndmask_b32_e32 v7, v2, v7, vcc
	v_cmp_gt_i32_e32 vcc, 31, v15
	v_lshl_or_b32 v5, v5, 9, v2
	v_cndmask_b32_e32 v14, v2, v14, vcc
	v_cmp_eq_u32_e32 vcc, s11, v10
	v_lshl_or_b32 v12, v12, 9, v2
	v_cndmask_b32_e32 v5, v7, v5, vcc
	v_cmp_eq_u32_e32 vcc, s11, v15
	v_lshrrev_b32_e32 v13, 16, v13
	v_cndmask_b32_e32 v7, v14, v12, vcc
	v_and_or_b32 v5, v11, s14, v5
	v_and_or_b32 v7, v13, s14, v7
	v_and_b32_e32 v5, 0xffff, v5
	v_lshl_or_b32 v5, v7, 16, v5
	global_store_dword v[3:4], v5, off
	global_load_dword v3, v[8:9], off offset:772
	v_lshrrev_b32_e32 v4, 16, v6
	v_mov_b32_e32 v7, s7
	s_waitcnt vmcnt(0)
	v_mul_f16_sdwa v5, v4, v3 dst_sel:DWORD dst_unused:UNUSED_PAD src0_sel:DWORD src1_sel:WORD_1
	v_fma_f16 v5, v6, v3, v5
	v_mul_f16_sdwa v6, v6, v3 dst_sel:DWORD dst_unused:UNUSED_PAD src0_sel:DWORD src1_sel:WORD_1
	v_cvt_f32_f16_e32 v5, v5
	v_fma_f16 v3, v3, v4, -v6
	v_cvt_f32_f16_e32 v6, v3
	v_cvt_f64_f32_e32 v[3:4], v5
	v_cvt_f64_f32_e32 v[5:6], v6
	v_mul_f64 v[3:4], v[3:4], s[12:13]
	v_mul_f64 v[5:6], v[5:6], s[12:13]
	v_and_or_b32 v3, v4, s15, v3
	v_cmp_ne_u32_e32 vcc, 0, v3
	v_and_or_b32 v5, v6, s15, v5
	v_lshrrev_b32_e32 v8, 8, v4
	v_bfe_u32 v9, v4, 20, 11
	v_cndmask_b32_e64 v3, 0, 1, vcc
	v_cmp_ne_u32_e32 vcc, 0, v5
	v_lshrrev_b32_e32 v10, 8, v6
	v_bfe_u32 v11, v6, 20, 11
	v_sub_u32_e32 v12, 0x3f1, v9
	v_cndmask_b32_e64 v5, 0, 1, vcc
	v_and_or_b32 v3, v8, s10, v3
	v_sub_u32_e32 v13, 0x3f1, v11
	v_med3_i32 v8, v12, 0, 13
	v_and_or_b32 v5, v10, s10, v5
	v_or_b32_e32 v12, 0x1000, v3
	v_add_u32_e32 v9, 0xfffffc10, v9
	v_med3_i32 v10, v13, 0, 13
	v_cmp_ne_u32_e32 vcc, 0, v3
	v_or_b32_e32 v14, 0x1000, v5
	v_lshrrev_b32_e32 v16, v8, v12
	v_add_u32_e32 v11, 0xfffffc10, v11
	v_lshl_or_b32 v13, v9, 12, v3
	v_cndmask_b32_e64 v3, 0, 1, vcc
	v_cmp_ne_u32_e32 vcc, 0, v5
	v_lshrrev_b32_e32 v17, v10, v14
	v_lshlrev_b32_e32 v8, v8, v16
	v_lshl_or_b32 v15, v11, 12, v5
	v_cndmask_b32_e64 v5, 0, 1, vcc
	v_lshlrev_b32_e32 v10, v10, v17
	v_cmp_ne_u32_e32 vcc, v8, v12
	v_cndmask_b32_e64 v8, 0, 1, vcc
	v_cmp_ne_u32_e32 vcc, v10, v14
	v_cndmask_b32_e64 v10, 0, 1, vcc
	v_or_b32_e32 v8, v16, v8
	v_cmp_gt_i32_e32 vcc, 1, v9
	v_cndmask_b32_e32 v8, v13, v8, vcc
	v_or_b32_e32 v10, v17, v10
	v_cmp_gt_i32_e32 vcc, 1, v11
	v_and_b32_e32 v12, 7, v8
	v_cndmask_b32_e32 v10, v15, v10, vcc
	v_cmp_lt_i32_e32 vcc, 5, v12
	v_cmp_eq_u32_e64 s[0:1], 3, v12
	v_lshrrev_b32_e32 v8, 2, v8
	v_and_b32_e32 v13, 7, v10
	s_or_b64 vcc, s[0:1], vcc
	v_cmp_lt_i32_e64 s[2:3], 5, v13
	v_cmp_eq_u32_e64 s[4:5], 3, v13
	v_addc_co_u32_e32 v8, vcc, 0, v8, vcc
	v_lshrrev_b32_e32 v10, 2, v10
	s_or_b64 vcc, s[4:5], s[2:3]
	v_addc_co_u32_e32 v10, vcc, 0, v10, vcc
	v_cmp_gt_i32_e32 vcc, 31, v9
	v_cndmask_b32_e32 v8, v2, v8, vcc
	v_cmp_gt_i32_e32 vcc, 31, v11
	v_lshl_or_b32 v3, v3, 9, v2
	v_lshl_or_b32 v5, v5, 9, v2
	v_cndmask_b32_e32 v2, v2, v10, vcc
	v_cmp_eq_u32_e32 vcc, s11, v9
	v_lshrrev_b32_e32 v4, 16, v4
	v_cndmask_b32_e32 v3, v8, v3, vcc
	v_cmp_eq_u32_e32 vcc, s11, v11
	v_lshrrev_b32_e32 v6, 16, v6
	v_cndmask_b32_e32 v2, v2, v5, vcc
	v_and_or_b32 v3, v4, s14, v3
	v_and_or_b32 v2, v6, s14, v2
	v_and_b32_e32 v3, 0xffff, v3
	v_add_co_u32_e32 v0, vcc, s6, v0
	v_lshl_or_b32 v2, v2, 16, v3
	v_addc_co_u32_e32 v1, vcc, v1, v7, vcc
	global_store_dword v[0:1], v2, off
.LBB0_15:
	s_endpgm
	.section	.rodata,"a",@progbits
	.p2align	6, 0x0
	.amdhsa_kernel bluestein_single_fwd_len195_dim1_half_op_CI_CI
		.amdhsa_group_segment_fixed_size 3120
		.amdhsa_private_segment_fixed_size 0
		.amdhsa_kernarg_size 104
		.amdhsa_user_sgpr_count 6
		.amdhsa_user_sgpr_private_segment_buffer 1
		.amdhsa_user_sgpr_dispatch_ptr 0
		.amdhsa_user_sgpr_queue_ptr 0
		.amdhsa_user_sgpr_kernarg_segment_ptr 1
		.amdhsa_user_sgpr_dispatch_id 0
		.amdhsa_user_sgpr_flat_scratch_init 0
		.amdhsa_user_sgpr_private_segment_size 0
		.amdhsa_uses_dynamic_stack 0
		.amdhsa_system_sgpr_private_segment_wavefront_offset 0
		.amdhsa_system_sgpr_workgroup_id_x 1
		.amdhsa_system_sgpr_workgroup_id_y 0
		.amdhsa_system_sgpr_workgroup_id_z 0
		.amdhsa_system_sgpr_workgroup_info 0
		.amdhsa_system_vgpr_workitem_id 0
		.amdhsa_next_free_vgpr 165
		.amdhsa_next_free_sgpr 31
		.amdhsa_reserve_vcc 1
		.amdhsa_reserve_flat_scratch 0
		.amdhsa_float_round_mode_32 0
		.amdhsa_float_round_mode_16_64 0
		.amdhsa_float_denorm_mode_32 3
		.amdhsa_float_denorm_mode_16_64 3
		.amdhsa_dx10_clamp 1
		.amdhsa_ieee_mode 1
		.amdhsa_fp16_overflow 0
		.amdhsa_exception_fp_ieee_invalid_op 0
		.amdhsa_exception_fp_denorm_src 0
		.amdhsa_exception_fp_ieee_div_zero 0
		.amdhsa_exception_fp_ieee_overflow 0
		.amdhsa_exception_fp_ieee_underflow 0
		.amdhsa_exception_fp_ieee_inexact 0
		.amdhsa_exception_int_div_zero 0
	.end_amdhsa_kernel
	.text
.Lfunc_end0:
	.size	bluestein_single_fwd_len195_dim1_half_op_CI_CI, .Lfunc_end0-bluestein_single_fwd_len195_dim1_half_op_CI_CI
                                        ; -- End function
	.section	.AMDGPU.csdata,"",@progbits
; Kernel info:
; codeLenInByte = 36552
; NumSgprs: 35
; NumVgprs: 165
; ScratchSize: 0
; MemoryBound: 0
; FloatMode: 240
; IeeeMode: 1
; LDSByteSize: 3120 bytes/workgroup (compile time only)
; SGPRBlocks: 4
; VGPRBlocks: 41
; NumSGPRsForWavesPerEU: 35
; NumVGPRsForWavesPerEU: 165
; Occupancy: 1
; WaveLimiterHint : 1
; COMPUTE_PGM_RSRC2:SCRATCH_EN: 0
; COMPUTE_PGM_RSRC2:USER_SGPR: 6
; COMPUTE_PGM_RSRC2:TRAP_HANDLER: 0
; COMPUTE_PGM_RSRC2:TGID_X_EN: 1
; COMPUTE_PGM_RSRC2:TGID_Y_EN: 0
; COMPUTE_PGM_RSRC2:TGID_Z_EN: 0
; COMPUTE_PGM_RSRC2:TIDIG_COMP_CNT: 0
	.type	__hip_cuid_44588316edfac61f,@object ; @__hip_cuid_44588316edfac61f
	.section	.bss,"aw",@nobits
	.globl	__hip_cuid_44588316edfac61f
__hip_cuid_44588316edfac61f:
	.byte	0                               ; 0x0
	.size	__hip_cuid_44588316edfac61f, 1

	.ident	"AMD clang version 19.0.0git (https://github.com/RadeonOpenCompute/llvm-project roc-6.4.0 25133 c7fe45cf4b819c5991fe208aaa96edf142730f1d)"
	.section	".note.GNU-stack","",@progbits
	.addrsig
	.addrsig_sym __hip_cuid_44588316edfac61f
	.amdgpu_metadata
---
amdhsa.kernels:
  - .args:
      - .actual_access:  read_only
        .address_space:  global
        .offset:         0
        .size:           8
        .value_kind:     global_buffer
      - .actual_access:  read_only
        .address_space:  global
        .offset:         8
        .size:           8
        .value_kind:     global_buffer
      - .actual_access:  read_only
        .address_space:  global
        .offset:         16
        .size:           8
        .value_kind:     global_buffer
      - .actual_access:  read_only
        .address_space:  global
        .offset:         24
        .size:           8
        .value_kind:     global_buffer
      - .actual_access:  read_only
        .address_space:  global
        .offset:         32
        .size:           8
        .value_kind:     global_buffer
      - .offset:         40
        .size:           8
        .value_kind:     by_value
      - .address_space:  global
        .offset:         48
        .size:           8
        .value_kind:     global_buffer
      - .address_space:  global
        .offset:         56
        .size:           8
        .value_kind:     global_buffer
      - .address_space:  global
        .offset:         64
        .size:           8
        .value_kind:     global_buffer
      - .address_space:  global
        .offset:         72
        .size:           8
        .value_kind:     global_buffer
      - .offset:         80
        .size:           4
        .value_kind:     by_value
      - .address_space:  global
        .offset:         88
        .size:           8
        .value_kind:     global_buffer
      - .address_space:  global
        .offset:         96
        .size:           8
        .value_kind:     global_buffer
    .group_segment_fixed_size: 3120
    .kernarg_segment_align: 8
    .kernarg_segment_size: 104
    .language:       OpenCL C
    .language_version:
      - 2
      - 0
    .max_flat_workgroup_size: 52
    .name:           bluestein_single_fwd_len195_dim1_half_op_CI_CI
    .private_segment_fixed_size: 0
    .sgpr_count:     35
    .sgpr_spill_count: 0
    .symbol:         bluestein_single_fwd_len195_dim1_half_op_CI_CI.kd
    .uniform_work_group_size: 1
    .uses_dynamic_stack: false
    .vgpr_count:     165
    .vgpr_spill_count: 0
    .wavefront_size: 64
amdhsa.target:   amdgcn-amd-amdhsa--gfx906
amdhsa.version:
  - 1
  - 2
...

	.end_amdgpu_metadata
